;; amdgpu-corpus repo=ROCm/rocFFT kind=compiled arch=gfx1030 opt=O3
	.text
	.amdgcn_target "amdgcn-amd-amdhsa--gfx1030"
	.amdhsa_code_object_version 6
	.protected	bluestein_single_fwd_len270_dim1_half_op_CI_CI ; -- Begin function bluestein_single_fwd_len270_dim1_half_op_CI_CI
	.globl	bluestein_single_fwd_len270_dim1_half_op_CI_CI
	.p2align	8
	.type	bluestein_single_fwd_len270_dim1_half_op_CI_CI,@function
bluestein_single_fwd_len270_dim1_half_op_CI_CI: ; @bluestein_single_fwd_len270_dim1_half_op_CI_CI
; %bb.0:
	s_load_dwordx4 s[8:11], s[4:5], 0x28
	v_mul_u32_u24_e32 v1, 0x97c, v0
	v_mov_b32_e32 v2, 0
	s_mov_b32 s0, exec_lo
	v_lshrrev_b32_e32 v3, 16, v1
	v_lshl_add_u32 v1, s6, 2, v3
	s_waitcnt lgkmcnt(0)
	v_cmpx_gt_u64_e64 s[8:9], v[1:2]
	s_cbranch_execz .LBB0_26
; %bb.1:
	s_clause 0x1
	s_load_dwordx4 s[0:3], s[4:5], 0x18
	s_load_dwordx4 s[12:15], s[4:5], 0x0
	v_mul_lo_u16 v2, v3, 27
	v_and_b32_e32 v3, 3, v3
	v_sub_nc_u16 v2, v0, v2
	v_mul_u32_u24_e32 v3, 0x10e, v3
	v_and_b32_e32 v0, 0xffff, v2
	v_lshlrev_b32_e32 v53, 2, v3
	v_lshlrev_b32_e32 v55, 2, v0
	s_waitcnt lgkmcnt(0)
	s_load_dwordx4 s[16:19], s[0:1], 0x0
	global_load_dword v52, v55, s[12:13]
	v_add_nc_u32_e32 v46, v53, v55
	s_waitcnt lgkmcnt(0)
	v_mad_u64_u32 v[4:5], null, s18, v1, 0
	v_mad_u64_u32 v[6:7], null, s16, v0, 0
	s_mul_i32 s0, s17, 0x6c
	s_mul_hi_u32 s1, s16, 0x6c
	s_mul_i32 s6, s16, 0x6c
	s_add_i32 s1, s1, s0
	v_mad_u64_u32 v[8:9], null, s19, v1, v[5:6]
	v_mad_u64_u32 v[9:10], null, s17, v0, v[7:8]
	v_mov_b32_e32 v5, v8
	v_lshlrev_b64 v[4:5], 2, v[4:5]
	v_mov_b32_e32 v7, v9
	v_add_co_u32 v4, vcc_lo, s10, v4
	v_lshlrev_b64 v[6:7], 2, v[6:7]
	v_add_co_ci_u32_e32 v5, vcc_lo, s11, v5, vcc_lo
	v_add_co_u32 v4, vcc_lo, v4, v6
	v_add_co_ci_u32_e32 v5, vcc_lo, v5, v7, vcc_lo
	v_add_co_u32 v6, vcc_lo, v4, s6
	v_add_co_ci_u32_e32 v7, vcc_lo, s1, v5, vcc_lo
	s_clause 0x1
	global_load_dword v8, v[4:5], off
	global_load_dword v9, v[6:7], off
	v_add_co_u32 v4, vcc_lo, v6, s6
	v_add_co_ci_u32_e32 v5, vcc_lo, s1, v7, vcc_lo
	v_add_co_u32 v6, vcc_lo, v4, s6
	v_add_co_ci_u32_e32 v7, vcc_lo, s1, v5, vcc_lo
	s_clause 0x1
	global_load_dword v51, v55, s[12:13] offset:108
	global_load_dword v50, v55, s[12:13] offset:216
	s_clause 0x1
	global_load_dword v10, v[4:5], off
	global_load_dword v11, v[6:7], off
	v_add_co_u32 v4, vcc_lo, v6, s6
	v_add_co_ci_u32_e32 v5, vcc_lo, s1, v7, vcc_lo
	s_clause 0x3
	global_load_dword v49, v55, s[12:13] offset:324
	global_load_dword v48, v55, s[12:13] offset:432
	;; [unrolled: 1-line block ×4, first 2 shown]
	v_add_co_u32 v6, vcc_lo, v4, s6
	v_add_co_ci_u32_e32 v7, vcc_lo, s1, v5, vcc_lo
	global_load_dword v12, v[4:5], off
	v_add_co_u32 v4, vcc_lo, v6, s6
	v_add_co_ci_u32_e32 v5, vcc_lo, s1, v7, vcc_lo
	global_load_dword v13, v[6:7], off
	v_add_co_u32 v6, vcc_lo, v4, s6
	v_add_co_ci_u32_e32 v7, vcc_lo, s1, v5, vcc_lo
	global_load_dword v14, v[4:5], off
	v_add_co_u32 v4, vcc_lo, v6, s6
	v_add_co_ci_u32_e32 v5, vcc_lo, s1, v7, vcc_lo
	global_load_dword v15, v[6:7], off
	v_add_co_u32 v6, vcc_lo, v4, s6
	v_add_co_ci_u32_e32 v7, vcc_lo, s1, v5, vcc_lo
	global_load_dword v44, v55, s[12:13] offset:756
	global_load_dword v4, v[4:5], off
	global_load_dword v5, v[6:7], off
	s_clause 0x1
	global_load_dword v43, v55, s[12:13] offset:864
	global_load_dword v42, v55, s[12:13] offset:972
	s_load_dwordx4 s[8:11], s[2:3], 0x0
	s_load_dwordx2 s[2:3], s[4:5], 0x38
	v_cmp_gt_u16_e32 vcc_lo, 9, v2
	s_waitcnt vmcnt(18)
	v_lshrrev_b32_e32 v6, 16, v8
	v_mul_f16_sdwa v3, v52, v8 dst_sel:DWORD dst_unused:UNUSED_PAD src0_sel:WORD_1 src1_sel:DWORD
	s_waitcnt vmcnt(17)
	v_lshrrev_b32_e32 v16, 16, v9
	v_mul_f16_sdwa v7, v52, v6 dst_sel:DWORD dst_unused:UNUSED_PAD src0_sel:WORD_1 src1_sel:DWORD
	v_fma_f16 v3, v52, v6, -v3
	s_waitcnt vmcnt(16)
	v_mul_f16_sdwa v17, v51, v9 dst_sel:DWORD dst_unused:UNUSED_PAD src0_sel:WORD_1 src1_sel:DWORD
	v_fmac_f16_e32 v7, v52, v8
	v_mul_f16_sdwa v6, v51, v16 dst_sel:DWORD dst_unused:UNUSED_PAD src0_sel:WORD_1 src1_sel:DWORD
	s_waitcnt vmcnt(14)
	v_lshrrev_b32_e32 v8, 16, v10
	v_fma_f16 v16, v51, v16, -v17
	v_mul_f16_sdwa v17, v50, v10 dst_sel:DWORD dst_unused:UNUSED_PAD src0_sel:WORD_1 src1_sel:DWORD
	v_pack_b32_f16 v3, v7, v3
	v_fmac_f16_e32 v6, v51, v9
	v_mul_f16_sdwa v7, v50, v8 dst_sel:DWORD dst_unused:UNUSED_PAD src0_sel:WORD_1 src1_sel:DWORD
	s_waitcnt vmcnt(13)
	v_lshrrev_b32_e32 v9, 16, v11
	v_fma_f16 v8, v50, v8, -v17
	s_waitcnt vmcnt(12)
	v_mul_f16_sdwa v17, v49, v11 dst_sel:DWORD dst_unused:UNUSED_PAD src0_sel:WORD_1 src1_sel:DWORD
	v_pack_b32_f16 v6, v6, v16
	v_fmac_f16_e32 v7, v50, v10
	v_mul_f16_sdwa v10, v49, v9 dst_sel:DWORD dst_unused:UNUSED_PAD src0_sel:WORD_1 src1_sel:DWORD
	s_waitcnt vmcnt(8)
	v_lshrrev_b32_e32 v16, 16, v12
	v_mul_f16_sdwa v18, v48, v12 dst_sel:DWORD dst_unused:UNUSED_PAD src0_sel:WORD_1 src1_sel:DWORD
	v_fma_f16 v9, v49, v9, -v17
	v_pack_b32_f16 v7, v7, v8
	v_fmac_f16_e32 v10, v49, v11
	v_mul_f16_sdwa v8, v48, v16 dst_sel:DWORD dst_unused:UNUSED_PAD src0_sel:WORD_1 src1_sel:DWORD
	v_fma_f16 v11, v48, v16, -v18
	s_waitcnt vmcnt(7)
	v_lshrrev_b32_e32 v16, 16, v13
	v_mul_f16_sdwa v17, v47, v13 dst_sel:DWORD dst_unused:UNUSED_PAD src0_sel:WORD_1 src1_sel:DWORD
	v_pack_b32_f16 v9, v10, v9
	v_fmac_f16_e32 v8, v48, v12
	s_waitcnt vmcnt(6)
	v_lshrrev_b32_e32 v10, 16, v14
	v_mul_f16_sdwa v12, v47, v16 dst_sel:DWORD dst_unused:UNUSED_PAD src0_sel:WORD_1 src1_sel:DWORD
	v_fma_f16 v16, v47, v16, -v17
	v_mul_f16_sdwa v17, v45, v14 dst_sel:DWORD dst_unused:UNUSED_PAD src0_sel:WORD_1 src1_sel:DWORD
	v_pack_b32_f16 v8, v8, v11
	v_mul_f16_sdwa v11, v45, v10 dst_sel:DWORD dst_unused:UNUSED_PAD src0_sel:WORD_1 src1_sel:DWORD
	v_fmac_f16_e32 v12, v47, v13
	s_waitcnt vmcnt(5)
	v_lshrrev_b32_e32 v13, 16, v15
	v_fma_f16 v10, v45, v10, -v17
	s_waitcnt vmcnt(4)
	v_mul_f16_sdwa v17, v44, v15 dst_sel:DWORD dst_unused:UNUSED_PAD src0_sel:WORD_1 src1_sel:DWORD
	v_fmac_f16_e32 v11, v45, v14
	s_waitcnt vmcnt(3)
	v_lshrrev_b32_e32 v14, 16, v4
	s_waitcnt vmcnt(2)
	v_lshrrev_b32_e32 v19, 16, v5
	v_mul_f16_sdwa v18, v44, v13 dst_sel:DWORD dst_unused:UNUSED_PAD src0_sel:WORD_1 src1_sel:DWORD
	v_fma_f16 v13, v44, v13, -v17
	s_waitcnt vmcnt(1)
	v_mul_f16_sdwa v17, v43, v4 dst_sel:DWORD dst_unused:UNUSED_PAD src0_sel:WORD_1 src1_sel:DWORD
	v_mul_f16_sdwa v20, v43, v14 dst_sel:DWORD dst_unused:UNUSED_PAD src0_sel:WORD_1 src1_sel:DWORD
	s_waitcnt vmcnt(0)
	v_mul_f16_sdwa v21, v42, v5 dst_sel:DWORD dst_unused:UNUSED_PAD src0_sel:WORD_1 src1_sel:DWORD
	v_mul_f16_sdwa v22, v42, v19 dst_sel:DWORD dst_unused:UNUSED_PAD src0_sel:WORD_1 src1_sel:DWORD
	v_fmac_f16_e32 v18, v44, v15
	v_fma_f16 v14, v43, v14, -v17
	v_fmac_f16_e32 v20, v43, v4
	v_fma_f16 v4, v42, v19, -v21
	v_fmac_f16_e32 v22, v42, v5
	v_pack_b32_f16 v5, v12, v16
	v_pack_b32_f16 v10, v11, v10
	;; [unrolled: 1-line block ×5, first 2 shown]
	ds_write2_b32 v46, v3, v6 offset1:27
	ds_write2_b32 v46, v7, v9 offset0:54 offset1:81
	ds_write2_b32 v46, v8, v5 offset0:108 offset1:135
	;; [unrolled: 1-line block ×4, first 2 shown]
	s_waitcnt lgkmcnt(0)
	s_barrier
	buffer_gl0_inv
	ds_read2_b32 v[3:4], v46 offset0:54 offset1:81
	ds_read2_b32 v[5:6], v46 offset0:108 offset1:135
	;; [unrolled: 1-line block ×4, first 2 shown]
	ds_read2_b32 v[11:12], v46 offset1:27
	v_mul_lo_u16 v13, v2, 10
	s_waitcnt lgkmcnt(0)
	s_barrier
	buffer_gl0_inv
                                        ; kill: def $vgpr2 killed $sgpr0 killed $exec
	v_and_b32_e32 v13, 0xffff, v13
	v_lshl_add_u32 v54, v13, 2, v53
	v_sub_f16_e32 v17, v3, v5
	v_sub_f16_e32 v20, v5, v3
	;; [unrolled: 1-line block ×4, first 2 shown]
	v_sub_f16_sdwa v26, v3, v5 dst_sel:DWORD dst_unused:UNUSED_PAD src0_sel:WORD_1 src1_sel:WORD_1
	v_sub_f16_sdwa v27, v9, v7 dst_sel:DWORD dst_unused:UNUSED_PAD src0_sel:WORD_1 src1_sel:WORD_1
	v_add_f16_e32 v30, v6, v8
	v_add_f16_e32 v35, v4, v10
	v_add_f16_sdwa v39, v6, v8 dst_sel:DWORD dst_unused:UNUSED_PAD src0_sel:WORD_1 src1_sel:WORD_1
	v_lshrrev_b32_e32 v40, 16, v12
	v_add_f16_sdwa v57, v4, v10 dst_sel:DWORD dst_unused:UNUSED_PAD src0_sel:WORD_1 src1_sel:WORD_1
	v_pk_add_f16 v38, v12, v4
	v_add_f16_e32 v13, v5, v7
	v_add_f16_e32 v18, v3, v9
	v_pk_add_f16 v21, v11, v3
	v_add_f16_sdwa v22, v5, v7 dst_sel:DWORD dst_unused:UNUSED_PAD src0_sel:WORD_1 src1_sel:WORD_1
	v_lshrrev_b32_e32 v23, 16, v11
	v_add_f16_sdwa v28, v3, v9 dst_sel:DWORD dst_unused:UNUSED_PAD src0_sel:WORD_1 src1_sel:WORD_1
	v_sub_f16_sdwa v31, v4, v10 dst_sel:DWORD dst_unused:UNUSED_PAD src0_sel:WORD_1 src1_sel:WORD_1
	v_sub_f16_sdwa v32, v6, v8 dst_sel:DWORD dst_unused:UNUSED_PAD src0_sel:WORD_1 src1_sel:WORD_1
	v_sub_f16_e32 v33, v10, v8
	v_sub_f16_e32 v34, v4, v6
	;; [unrolled: 1-line block ×3, first 2 shown]
	v_add_f16_e32 v16, v17, v16
	v_add_f16_e32 v17, v20, v19
	;; [unrolled: 1-line block ×3, first 2 shown]
	v_fma_f16 v20, -0.5, v30, v12
	v_fma_f16 v12, -0.5, v35, v12
	;; [unrolled: 1-line block ×3, first 2 shown]
	v_fmac_f16_e32 v40, -0.5, v57
	v_sub_f16_e32 v37, v6, v4
	v_sub_f16_e32 v41, v4, v10
	v_sub_f16_sdwa v56, v4, v6 dst_sel:DWORD dst_unused:UNUSED_PAD src0_sel:WORD_1 src1_sel:WORD_1
	v_sub_f16_sdwa v4, v6, v4 dst_sel:DWORD dst_unused:UNUSED_PAD src0_sel:WORD_1 src1_sel:WORD_1
	v_pk_add_f16 v6, v38, v6
	v_sub_f16_sdwa v14, v3, v9 dst_sel:DWORD dst_unused:UNUSED_PAD src0_sel:WORD_1 src1_sel:WORD_1
	v_sub_f16_sdwa v15, v5, v7 dst_sel:DWORD dst_unused:UNUSED_PAD src0_sel:WORD_1 src1_sel:WORD_1
	v_sub_f16_e32 v24, v3, v9
	v_sub_f16_e32 v25, v5, v7
	v_sub_f16_sdwa v3, v5, v3 dst_sel:DWORD dst_unused:UNUSED_PAD src0_sel:WORD_1 src1_sel:WORD_1
	v_sub_f16_e32 v36, v8, v10
	v_sub_f16_sdwa v60, v8, v10 dst_sel:DWORD dst_unused:UNUSED_PAD src0_sel:WORD_1 src1_sel:WORD_1
	v_fma_f16 v13, -0.5, v13, v11
	v_fma_f16 v11, -0.5, v18, v11
	v_pk_add_f16 v5, v21, v5
	v_fma_f16 v18, -0.5, v22, v23
	v_fmac_f16_e32 v23, -0.5, v28
	v_add_f16_e32 v21, v34, v33
	v_fmamk_f16 v33, v31, 0x3b9c, v20
	v_fmamk_f16 v34, v32, 0xbb9c, v12
	v_fmac_f16_e32 v12, 0x3b9c, v32
	v_fmamk_f16 v35, v58, 0x3b9c, v40
	v_fmac_f16_e32 v40, 0xbb9c, v58
	v_sub_f16_sdwa v29, v7, v9 dst_sel:DWORD dst_unused:UNUSED_PAD src0_sel:WORD_1 src1_sel:WORD_1
	v_sub_f16_sdwa v59, v10, v8 dst_sel:DWORD dst_unused:UNUSED_PAD src0_sel:WORD_1 src1_sel:WORD_1
	v_fmac_f16_e32 v20, 0xbb9c, v31
	v_pk_add_f16 v6, v6, v8
	v_fmamk_f16 v8, v41, 0xbb9c, v26
	v_fmac_f16_e32 v26, 0x3b9c, v41
	v_add_f16_e32 v22, v37, v36
	v_add_f16_e32 v4, v4, v60
	v_fmamk_f16 v28, v14, 0x3b9c, v13
	v_fmac_f16_e32 v13, 0xbb9c, v14
	v_pk_add_f16 v5, v5, v7
	v_fmamk_f16 v30, v25, 0x3b9c, v23
	v_fmac_f16_e32 v23, 0xbb9c, v25
	v_fmac_f16_e32 v33, 0x38b4, v32
	;; [unrolled: 1-line block ×6, first 2 shown]
	v_add_f16_e32 v3, v3, v29
	v_add_f16_e32 v27, v56, v59
	v_fmamk_f16 v29, v15, 0xbb9c, v11
	v_fmac_f16_e32 v11, 0x3b9c, v15
	v_fmac_f16_e32 v20, 0xb8b4, v32
	;; [unrolled: 1-line block ×3, first 2 shown]
	v_fmamk_f16 v7, v24, 0xbb9c, v18
	v_fmac_f16_e32 v28, 0x38b4, v15
	v_fmac_f16_e32 v13, 0xb8b4, v15
	v_pk_add_f16 v5, v5, v9
	v_fmac_f16_e32 v30, 0xb8b4, v24
	v_fmac_f16_e32 v23, 0x38b4, v24
	v_pk_add_f16 v6, v6, v10
	v_fmac_f16_e32 v8, 0xb8b4, v58
	v_fmac_f16_e32 v33, 0x34f2, v21
	;; [unrolled: 1-line block ×17, first 2 shown]
	v_pk_add_f16 v3, v5, v6
	v_pk_add_f16 v6, v5, v6 neg_lo:[0,1] neg_hi:[0,1]
	v_mul_f16_e32 v4, 0x3a79, v33
	v_mul_f16_e32 v5, 0x3b9c, v35
	;; [unrolled: 1-line block ×6, first 2 shown]
	v_fmac_f16_e32 v18, 0x38b4, v25
	v_fmac_f16_e32 v29, 0x34f2, v17
	;; [unrolled: 1-line block ×3, first 2 shown]
	v_mul_f16_e32 v10, 0x3a79, v20
	v_mul_f16_e32 v17, 0x3a79, v26
	v_fmac_f16_e32 v7, 0x34f2, v19
	v_fmac_f16_e32 v4, 0x38b4, v8
	;; [unrolled: 1-line block ×3, first 2 shown]
	v_fma_f16 v9, v40, 0x3b9c, -v9
	v_fmac_f16_e32 v14, 0x3a79, v8
	v_fmac_f16_e32 v15, 0x34f2, v35
	v_fma_f16 v8, v12, 0xbb9c, -v16
	v_fmac_f16_e32 v18, 0x34f2, v19
	v_fma_f16 v10, v26, 0x38b4, -v10
	v_fma_f16 v12, v20, 0xb8b4, -v17
	v_add_f16_e32 v16, v28, v4
	v_add_f16_e32 v17, v29, v5
	;; [unrolled: 1-line block ×8, first 2 shown]
	v_sub_f16_e32 v27, v28, v4
	v_sub_f16_e32 v5, v29, v5
	;; [unrolled: 1-line block ×8, first 2 shown]
	v_pack_b32_f16 v4, v16, v22
	v_pack_b32_f16 v8, v19, v25
	v_pack_b32_f16 v7, v17, v24
	v_pack_b32_f16 v9, v27, v9
	v_pack_b32_f16 v10, v5, v10
	v_pack_b32_f16 v5, v21, v26
	v_pack_b32_f16 v12, v20, v34
	v_pack_b32_f16 v11, v11, v13
	ds_write2_b64 v54, v[3:4], v[7:8] offset1:1
	ds_write2_b64 v54, v[5:6], v[9:10] offset0:2 offset1:3
	ds_write_b64 v54, v[11:12] offset:32
	s_waitcnt lgkmcnt(0)
	s_barrier
	buffer_gl0_inv
	ds_read2_b32 v[14:15], v46 offset1:27
	ds_read2_b32 v[12:13], v46 offset0:54 offset1:90
	ds_read2_b32 v[16:17], v46 offset0:180 offset1:207
	;; [unrolled: 1-line block ×3, first 2 shown]
	ds_read_b32 v24, v46 offset:936
                                        ; implicit-def: $vgpr26
                                        ; implicit-def: $vgpr25
                                        ; implicit-def: $vgpr27
	s_and_saveexec_b32 s0, vcc_lo
	s_cbranch_execz .LBB0_3
; %bb.2:
	ds_read2_b32 v[20:21], v46 offset0:81 offset1:171
	ds_read_b32 v25, v46 offset:1044
	s_waitcnt lgkmcnt(1)
	v_lshrrev_b32_e32 v34, 16, v20
	v_lshrrev_b32_e32 v26, 16, v21
	s_waitcnt lgkmcnt(0)
	v_lshrrev_b32_e32 v27, 16, v25
.LBB0_3:
	s_or_b32 exec_lo, exec_lo, s0
	v_and_b32_e32 v2, 0xff, v0
	v_add_co_u32 v22, s0, v0, 27
	v_add_co_ci_u32_e64 v23, null, 0, 0, s0
	v_mul_lo_u16 v2, 0xcd, v2
	v_add_co_u32 v10, s0, v0, 54
	v_add_co_ci_u32_e64 v11, null, 0, 0, s0
	v_lshrrev_b16 v28, 11, v2
	v_and_b32_e32 v2, 0xff, v22
	v_add_co_u32 v63, s0, 0x51, v0
	v_and_b32_e32 v36, 0xff, v10
	v_mul_lo_u16 v3, v28, 10
	v_mul_lo_u16 v2, 0xcd, v2
	v_and_b32_e32 v35, 0xff, v63
	v_mov_b32_e32 v5, 3
	v_mov_b32_e32 v56, 30
	v_sub_nc_u16 v29, v0, v3
	v_mul_lo_u16 v3, 0xcd, v36
	v_lshrrev_b16 v30, 11, v2
	v_mul_lo_u16 v4, 0xcd, v35
	s_waitcnt lgkmcnt(3)
	v_lshrrev_b32_e32 v39, 16, v13
	v_lshlrev_b16 v2, 1, v29
	v_lshrrev_b16 v31, 11, v3
	v_mul_lo_u16 v3, v30, 10
	v_lshrrev_b16 v4, 11, v4
	v_mul_lo_u16 v30, v30, 30
	v_and_b32_e32 v2, 0xfe, v2
	v_mul_lo_u16 v6, v31, 10
	v_sub_nc_u16 v32, v22, v3
	v_mul_lo_u16 v3, v4, 10
	v_mad_u16 v28, v28, 30, v29
	v_lshlrev_b32_e32 v2, 2, v2
	v_sub_nc_u16 v33, v10, v6
	v_lshlrev_b32_sdwa v4, v5, v32 dst_sel:DWORD dst_unused:UNUSED_PAD src0_sel:DWORD src1_sel:BYTE_0
	v_sub_nc_u16 v37, v63, v3
	v_and_b32_e32 v29, 0xfe, v30
	global_load_dwordx2 v[8:9], v2, s[14:15]
	v_mul_u32_u24_sdwa v30, v31, v56 dst_sel:DWORD dst_unused:UNUSED_PAD src0_sel:WORD_0 src1_sel:DWORD
	global_load_dwordx2 v[6:7], v4, s[14:15]
	v_lshlrev_b32_sdwa v2, v5, v33 dst_sel:DWORD dst_unused:UNUSED_PAD src0_sel:DWORD src1_sel:BYTE_0
	v_lshlrev_b16 v3, 1, v37
	s_waitcnt lgkmcnt(2)
	v_lshrrev_b32_e32 v40, 16, v16
	s_waitcnt lgkmcnt(1)
	v_lshrrev_b32_e32 v60, 16, v18
	v_lshrrev_b32_e32 v61, 16, v17
	global_load_dwordx2 v[4:5], v2, s[14:15]
	v_and_b32_e32 v2, 0xfe, v3
	v_and_b32_e32 v28, 0xff, v28
	v_add_nc_u32_sdwa v29, v29, v32 dst_sel:DWORD dst_unused:UNUSED_PAD src0_sel:DWORD src1_sel:BYTE_0
	v_add_nc_u32_sdwa v30, v30, v33 dst_sel:DWORD dst_unused:UNUSED_PAD src0_sel:DWORD src1_sel:BYTE_0
	v_lshrrev_b32_e32 v62, 16, v19
	v_lshlrev_b32_e32 v2, 2, v2
	s_waitcnt lgkmcnt(0)
	v_lshrrev_b32_e32 v32, 16, v24
	v_and_b32_e32 v56, 0xff, v37
	v_lshl_add_u32 v59, v28, 2, v53
	v_lshl_add_u32 v58, v29, 2, v53
	global_load_dwordx2 v[2:3], v2, s[14:15]
	v_lshl_add_u32 v57, v30, 2, v53
	v_lshrrev_b32_e32 v38, 16, v14
	v_lshrrev_b32_e32 v31, 16, v12
	v_lshrrev_b32_e32 v41, 16, v15
	v_add_co_ci_u32_e64 v64, null, 0, 0, s0
	s_waitcnt vmcnt(0)
	s_barrier
	buffer_gl0_inv
	v_mul_f16_sdwa v28, v39, v8 dst_sel:DWORD dst_unused:UNUSED_PAD src0_sel:DWORD src1_sel:WORD_1
	v_mul_f16_sdwa v29, v13, v8 dst_sel:DWORD dst_unused:UNUSED_PAD src0_sel:DWORD src1_sel:WORD_1
	;; [unrolled: 1-line block ×12, first 2 shown]
	v_fma_f16 v13, v13, v8, -v28
	v_fmac_f16_e32 v29, v39, v8
	v_fma_f16 v16, v16, v9, -v30
	v_fmac_f16_e32 v33, v40, v9
	v_fma_f16 v18, v18, v6, -v37
	v_fma_f16 v17, v17, v7, -v66
	v_fmac_f16_e32 v65, v60, v6
	v_mul_f16_sdwa v28, v26, v2 dst_sel:DWORD dst_unused:UNUSED_PAD src0_sel:DWORD src1_sel:WORD_1
	v_mul_f16_sdwa v30, v21, v2 dst_sel:DWORD dst_unused:UNUSED_PAD src0_sel:DWORD src1_sel:WORD_1
	;; [unrolled: 1-line block ×4, first 2 shown]
	v_fmac_f16_e32 v67, v61, v7
	v_fma_f16 v19, v19, v4, -v68
	v_fmac_f16_e32 v69, v62, v4
	v_fma_f16 v24, v24, v5, -v70
	;; [unrolled: 2-line block ×4, first 2 shown]
	v_fmac_f16_e32 v39, v27, v3
	v_add_f16_e32 v27, v13, v16
	v_sub_f16_e32 v28, v29, v33
	v_add_f16_e32 v32, v38, v29
	v_add_f16_e32 v29, v29, v33
	;; [unrolled: 1-line block ×6, first 2 shown]
	v_sub_f16_e32 v68, v69, v71
	v_add_f16_e32 v70, v31, v69
	v_add_f16_e32 v69, v69, v71
	;; [unrolled: 1-line block ×3, first 2 shown]
	v_sub_f16_e32 v13, v13, v16
	v_sub_f16_e32 v60, v65, v67
	v_add_f16_e32 v61, v41, v65
	v_sub_f16_e32 v18, v18, v17
	v_add_f16_e32 v65, v12, v19
	v_fma_f16 v14, -0.5, v27, v14
	v_add_f16_e32 v27, v32, v33
	v_fmac_f16_e32 v38, -0.5, v29
	v_add_f16_e32 v17, v37, v17
	v_fmac_f16_e32 v15, -0.5, v40
	v_add_f16_e32 v33, v21, v25
	v_sub_f16_e32 v37, v30, v39
	v_add_f16_e32 v40, v34, v30
	v_add_f16_e32 v30, v30, v39
	v_fmac_f16_e32 v41, -0.5, v62
	v_sub_f16_e32 v19, v19, v24
	v_fmac_f16_e32 v12, -0.5, v66
	v_fmac_f16_e32 v31, -0.5, v69
	v_add_f16_e32 v16, v26, v16
	v_add_f16_e32 v29, v61, v67
	;; [unrolled: 1-line block ×5, first 2 shown]
	v_sub_f16_e32 v61, v21, v25
	v_fmamk_f16 v62, v28, 0x3aee, v14
	v_fmac_f16_e32 v14, 0xbaee, v28
	v_fmamk_f16 v28, v13, 0xbaee, v38
	v_fmac_f16_e32 v20, -0.5, v33
	v_fmac_f16_e32 v34, -0.5, v30
	v_fmac_f16_e32 v38, 0x3aee, v13
	v_fmamk_f16 v13, v60, 0x3aee, v15
	v_fmac_f16_e32 v15, 0xbaee, v60
	v_fmamk_f16 v60, v18, 0xbaee, v41
	v_fmac_f16_e32 v41, 0x3aee, v18
	v_fmamk_f16 v18, v68, 0x3aee, v12
	v_fmamk_f16 v66, v19, 0xbaee, v31
	v_fmac_f16_e32 v12, 0xbaee, v68
	v_fmac_f16_e32 v31, 0x3aee, v19
	v_add_f16_e32 v26, v26, v25
	v_add_f16_e32 v65, v40, v39
	v_pack_b32_f16 v16, v16, v27
	v_pack_b32_f16 v19, v24, v32
	v_fmamk_f16 v27, v37, 0x3aee, v20
	v_fmac_f16_e32 v20, 0xbaee, v37
	v_fmamk_f16 v21, v61, 0xbaee, v34
	v_fmac_f16_e32 v34, 0x3aee, v61
	v_pack_b32_f16 v24, v62, v28
	v_pack_b32_f16 v14, v14, v38
	;; [unrolled: 1-line block ×7, first 2 shown]
	ds_write2_b32 v59, v16, v24 offset1:10
	ds_write_b32 v59, v14 offset:80
	ds_write2_b32 v58, v17, v13 offset1:10
	ds_write_b32 v58, v15 offset:80
	;; [unrolled: 2-line block ×3, first 2 shown]
	s_and_saveexec_b32 s0, vcc_lo
	s_cbranch_execz .LBB0_5
; %bb.4:
	v_lshl_add_u32 v12, v56, 2, v53
	v_perm_b32 v13, v65, v26, 0x5040100
	v_perm_b32 v14, v21, v27, 0x5040100
	;; [unrolled: 1-line block ×3, first 2 shown]
	ds_write2_b32 v12, v13, v14 offset0:240 offset1:250
	ds_write_b32 v12, v15 offset:1040
.LBB0_5:
	s_or_b32 exec_lo, exec_lo, s0
	s_waitcnt lgkmcnt(0)
	s_barrier
	buffer_gl0_inv
	ds_read2_b32 v[28:29], v46 offset1:27
	ds_read2_b32 v[24:25], v46 offset0:54 offset1:90
	ds_read2_b32 v[30:31], v46 offset0:180 offset1:207
	;; [unrolled: 1-line block ×3, first 2 shown]
	ds_read_b32 v37, v46 offset:936
	s_and_saveexec_b32 s0, vcc_lo
	s_cbranch_execz .LBB0_7
; %bb.6:
	ds_read2_b32 v[26:27], v46 offset0:81 offset1:171
	ds_read_b32 v20, v46 offset:1044
	s_waitcnt lgkmcnt(1)
	v_lshrrev_b32_e32 v65, 16, v26
	v_lshrrev_b32_e32 v21, 16, v27
	s_waitcnt lgkmcnt(0)
	v_lshrrev_b32_e32 v34, 16, v20
.LBB0_7:
	s_or_b32 exec_lo, exec_lo, s0
	v_add_co_u32 v12, s0, v0, -3
	v_add_co_ci_u32_e64 v13, null, 0, -1, s0
	v_cmp_gt_u16_e64 s0, 3, v0
	v_mul_lo_u16 v16, 0x89, v36
	v_mul_lo_u16 v18, 0x89, v35
	v_lshlrev_b32_e32 v40, 3, v0
	v_mov_b32_e32 v17, 3
	v_cndmask_b32_e64 v39, v13, v23, s0
	v_cndmask_b32_e64 v38, v12, v22, s0
	v_lshrrev_b16 v36, 12, v16
	global_load_dwordx2 v[14:15], v40, s[14:15] offset:80
	v_mov_b32_e32 v41, 0x5a
	s_waitcnt lgkmcnt(3)
	v_lshrrev_b32_e32 v66, 16, v25
	v_lshlrev_b64 v[12:13], 3, v[38:39]
	v_mul_lo_u16 v16, v36, 30
	s_waitcnt lgkmcnt(2)
	v_lshrrev_b32_e32 v67, 16, v30
	v_mul_u32_u24_sdwa v36, v36, v41 dst_sel:DWORD dst_unused:UNUSED_PAD src0_sel:WORD_0 src1_sel:DWORD
	v_lshrrev_b32_e32 v62, 16, v28
	s_waitcnt lgkmcnt(1)
	v_lshrrev_b32_e32 v69, 16, v32
	v_add_co_u32 v12, s0, s14, v12
	v_sub_nc_u16 v35, v10, v16
	v_add_co_ci_u32_e64 v13, s0, s15, v13, s0
	v_lshrrev_b16 v16, 12, v18
	v_lshrrev_b32_e32 v70, 16, v31
	v_lshlrev_b32_sdwa v17, v17, v35 dst_sel:DWORD dst_unused:UNUSED_PAD src0_sel:DWORD src1_sel:BYTE_0
	global_load_dwordx2 v[18:19], v[12:13], off offset:80
	v_add_nc_u32_sdwa v35, v36, v35 dst_sel:DWORD dst_unused:UNUSED_PAD src0_sel:DWORD src1_sel:BYTE_0
	v_mul_lo_u16 v12, v16, 30
	v_lshrrev_b32_e32 v72, 16, v33
	global_load_dwordx2 v[16:17], v17, s[14:15] offset:80
	s_waitcnt lgkmcnt(0)
	v_lshrrev_b32_e32 v73, 16, v37
	v_lshrrev_b32_e32 v71, 16, v24
	v_sub_nc_u16 v39, v63, v12
	v_lshrrev_b32_e32 v68, 16, v29
	v_lshlrev_b16 v12, 3, v39
	v_and_b32_e32 v12, 0xf8, v12
	v_add_co_u32 v12, s0, s14, v12
	v_add_co_ci_u32_e64 v13, null, s15, 0, s0
	v_cmp_lt_u16_e64 s0, 2, v0
	global_load_dwordx2 v[12:13], v[12:13], off offset:80
	s_waitcnt vmcnt(0)
	v_cndmask_b32_e64 v60, 0, 0x5a, s0
	s_barrier
	buffer_gl0_inv
	v_add_co_u32 v40, s0, s14, v40
	v_add_nc_u32_e32 v38, v38, v60
	v_lshl_add_u32 v60, v35, 2, v53
	v_add_co_ci_u32_e64 v41, null, s15, 0, s0
	v_lshl_add_u32 v61, v38, 2, v53
	v_mul_f16_sdwa v35, v66, v14 dst_sel:DWORD dst_unused:UNUSED_PAD src0_sel:DWORD src1_sel:WORD_1
	v_mul_f16_sdwa v36, v25, v14 dst_sel:DWORD dst_unused:UNUSED_PAD src0_sel:DWORD src1_sel:WORD_1
	;; [unrolled: 1-line block ×4, first 2 shown]
	v_fma_f16 v25, v25, v14, -v35
	v_fmac_f16_e32 v36, v66, v14
	v_fma_f16 v30, v30, v15, -v38
	v_fmac_f16_e32 v74, v67, v15
	v_add_f16_e32 v35, v28, v25
	v_add_f16_e32 v67, v62, v36
	;; [unrolled: 1-line block ×3, first 2 shown]
	v_sub_f16_e32 v66, v36, v74
	v_add_f16_e32 v36, v36, v74
	v_sub_f16_e32 v25, v25, v30
	v_add_f16_e32 v30, v35, v30
	v_fma_f16 v28, -0.5, v38, v28
	v_add_f16_e32 v35, v67, v74
	v_fmac_f16_e32 v62, -0.5, v36
	v_mul_f16_sdwa v36, v69, v18 dst_sel:DWORD dst_unused:UNUSED_PAD src0_sel:DWORD src1_sel:WORD_1
	v_mul_f16_sdwa v76, v33, v16 dst_sel:DWORD dst_unused:UNUSED_PAD src0_sel:DWORD src1_sel:WORD_1
	;; [unrolled: 1-line block ×8, first 2 shown]
	v_fmamk_f16 v79, v66, 0x3aee, v28
	v_fmac_f16_e32 v28, 0xbaee, v66
	v_fmamk_f16 v66, v25, 0xbaee, v62
	v_fmac_f16_e32 v76, v72, v16
	v_fmac_f16_e32 v78, v73, v17
	;; [unrolled: 1-line block ×3, first 2 shown]
	v_pack_b32_f16 v25, v30, v35
	v_fma_f16 v30, v32, v18, -v36
	v_fmac_f16_e32 v38, v69, v18
	v_fma_f16 v31, v31, v19, -v67
	v_fmac_f16_e32 v74, v70, v19
	v_fma_f16 v32, v33, v16, -v75
	v_fma_f16 v33, v37, v17, -v77
	v_pack_b32_f16 v35, v79, v66
	v_sub_f16_e32 v77, v76, v78
	v_add_f16_e32 v79, v71, v76
	v_add_f16_e32 v76, v76, v78
	v_pack_b32_f16 v28, v28, v62
	v_mul_f16_sdwa v67, v21, v12 dst_sel:DWORD dst_unused:UNUSED_PAD src0_sel:DWORD src1_sel:WORD_1
	v_mul_f16_sdwa v69, v27, v12 dst_sel:DWORD dst_unused:UNUSED_PAD src0_sel:DWORD src1_sel:WORD_1
	;; [unrolled: 1-line block ×4, first 2 shown]
	v_add_f16_e32 v36, v29, v30
	v_add_f16_e32 v37, v30, v31
	v_sub_f16_e32 v62, v38, v74
	v_add_f16_e32 v66, v68, v38
	v_add_f16_e32 v38, v38, v74
	;; [unrolled: 1-line block ×4, first 2 shown]
	v_sub_f16_e32 v32, v32, v33
	v_fma_f16 v27, v27, v12, -v67
	v_fmac_f16_e32 v69, v21, v12
	v_fma_f16 v20, v20, v13, -v70
	v_fmac_f16_e32 v72, v34, v13
	v_fmac_f16_e32 v71, -0.5, v76
	v_sub_f16_e32 v30, v30, v31
	ds_write2_b32 v46, v25, v35 offset1:30
	ds_write_b32 v46, v28 offset:240
	v_add_f16_e32 v25, v36, v31
	v_fmac_f16_e32 v29, -0.5, v37
	v_add_f16_e32 v28, v66, v74
	v_fmac_f16_e32 v68, -0.5, v38
	v_fmamk_f16 v35, v32, 0xbaee, v71
	v_fmac_f16_e32 v71, 0x3aee, v32
	v_add_f16_e32 v32, v27, v20
	v_add_f16_e32 v38, v69, v72
	v_fmac_f16_e32 v24, -0.5, v75
	v_add_f16_e32 v21, v73, v33
	v_add_f16_e32 v31, v79, v78
	v_fmamk_f16 v33, v62, 0x3aee, v29
	v_fmac_f16_e32 v29, 0xbaee, v62
	v_fmamk_f16 v34, v30, 0xbaee, v68
	v_fmac_f16_e32 v68, 0x3aee, v30
	v_pack_b32_f16 v25, v25, v28
	v_add_f16_e32 v28, v26, v27
	v_sub_f16_e32 v36, v69, v72
	v_add_f16_e32 v37, v65, v69
	v_sub_f16_e32 v62, v27, v20
	v_fmac_f16_e32 v26, -0.5, v32
	v_fmac_f16_e32 v65, -0.5, v38
	v_fmamk_f16 v30, v77, 0x3aee, v24
	v_fmac_f16_e32 v24, 0xbaee, v77
	v_pack_b32_f16 v21, v21, v31
	v_pack_b32_f16 v31, v33, v34
	;; [unrolled: 1-line block ×3, first 2 shown]
	v_add_f16_e32 v28, v28, v20
	v_add_f16_e32 v66, v37, v72
	v_fmamk_f16 v29, v36, 0x3aee, v26
	v_fmac_f16_e32 v26, 0xbaee, v36
	v_fmamk_f16 v27, v62, 0xbaee, v65
	v_fmac_f16_e32 v65, 0x3aee, v62
	v_and_b32_e32 v62, 0xff, v39
	v_pack_b32_f16 v20, v30, v35
	v_pack_b32_f16 v24, v24, v71
	ds_write2_b32 v61, v25, v31 offset1:30
	ds_write_b32 v61, v33 offset:240
	ds_write2_b32 v60, v21, v20 offset1:30
	ds_write_b32 v60, v24 offset:240
	s_and_saveexec_b32 s0, vcc_lo
	s_cbranch_execz .LBB0_9
; %bb.8:
	v_lshl_add_u32 v20, v62, 2, v53
	v_perm_b32 v21, v66, v28, 0x5040100
	v_perm_b32 v24, v27, v29, 0x5040100
	;; [unrolled: 1-line block ×3, first 2 shown]
	ds_write2_b32 v20, v21, v24 offset0:180 offset1:210
	ds_write_b32 v20, v25 offset:960
.LBB0_9:
	s_or_b32 exec_lo, exec_lo, s0
	s_waitcnt lgkmcnt(0)
	s_barrier
	buffer_gl0_inv
	ds_read2_b32 v[34:35], v46 offset1:27
	ds_read2_b32 v[32:33], v46 offset0:54 offset1:90
	ds_read2_b32 v[36:37], v46 offset0:180 offset1:207
	;; [unrolled: 1-line block ×3, first 2 shown]
	ds_read_b32 v67, v46 offset:936
	v_add_co_u32 v30, s0, s12, v55
	v_add_co_ci_u32_e64 v31, null, s13, 0, s0
	s_and_saveexec_b32 s0, vcc_lo
	s_cbranch_execz .LBB0_11
; %bb.10:
	ds_read2_b32 v[28:29], v46 offset0:81 offset1:171
	ds_read_b32 v26, v46 offset:1044
	s_waitcnt lgkmcnt(1)
	v_lshrrev_b32_e32 v66, 16, v28
	v_lshrrev_b32_e32 v27, 16, v29
	s_waitcnt lgkmcnt(0)
	v_lshrrev_b32_e32 v65, 16, v26
.LBB0_11:
	s_or_b32 exec_lo, exec_lo, s0
	v_lshlrev_b64 v[22:23], 3, v[22:23]
	v_lshlrev_b64 v[10:11], 3, v[10:11]
	global_load_dwordx2 v[20:21], v[40:41], off offset:320
	s_waitcnt lgkmcnt(1)
	v_lshrrev_b32_e32 v68, 16, v38
	v_lshrrev_b32_e32 v69, 16, v37
	;; [unrolled: 1-line block ×3, first 2 shown]
	v_add_co_u32 v22, s0, s14, v22
	v_add_co_ci_u32_e64 v23, s0, s15, v23, s0
	v_add_co_u32 v10, s0, s14, v10
	v_add_co_ci_u32_e64 v11, s0, s15, v11, s0
	global_load_dwordx2 v[22:23], v[22:23], off offset:320
	v_add_co_u32 v40, s0, v0, -9
	global_load_dwordx2 v[24:25], v[10:11], off offset:320
	v_add_co_ci_u32_e64 v41, null, 0, -1, s0
	v_cndmask_b32_e32 v10, v40, v63, vcc_lo
	v_lshrrev_b32_e32 v40, 16, v33
	v_lshrrev_b32_e32 v63, 16, v36
	v_cndmask_b32_e32 v11, v41, v64, vcc_lo
	v_lshrrev_b32_e32 v41, 16, v34
	v_lshrrev_b32_e32 v70, 16, v32
	;; [unrolled: 1-line block ×3, first 2 shown]
	v_lshlrev_b64 v[10:11], 3, v[10:11]
	v_add_co_u32 v10, s0, s14, v10
	v_add_co_ci_u32_e64 v11, s0, s15, v11, s0
	global_load_dwordx2 v[10:11], v[10:11], off offset:320
	s_waitcnt vmcnt(3)
	v_mul_f16_sdwa v71, v40, v20 dst_sel:DWORD dst_unused:UNUSED_PAD src0_sel:DWORD src1_sel:WORD_1
	v_mul_f16_sdwa v72, v33, v20 dst_sel:DWORD dst_unused:UNUSED_PAD src0_sel:DWORD src1_sel:WORD_1
	;; [unrolled: 1-line block ×4, first 2 shown]
	v_fma_f16 v33, v33, v20, -v71
	v_fmac_f16_e32 v72, v40, v20
	v_fma_f16 v36, v36, v21, -v73
	v_fmac_f16_e32 v74, v63, v21
	s_waitcnt lgkmcnt(0)
	v_lshrrev_b32_e32 v63, 16, v67
	v_add_f16_e32 v71, v34, v33
	v_add_f16_e32 v77, v41, v72
	;; [unrolled: 1-line block ×3, first 2 shown]
	v_sub_f16_e32 v76, v72, v74
	v_add_f16_e32 v72, v72, v74
	s_waitcnt vmcnt(1)
	v_mul_f16_sdwa v83, v39, v24 dst_sel:DWORD dst_unused:UNUSED_PAD src0_sel:DWORD src1_sel:WORD_1
	v_mul_f16_sdwa v85, v67, v25 dst_sel:DWORD dst_unused:UNUSED_PAD src0_sel:DWORD src1_sel:WORD_1
	v_sub_f16_e32 v33, v33, v36
	v_mul_f16_sdwa v78, v68, v22 dst_sel:DWORD dst_unused:UNUSED_PAD src0_sel:DWORD src1_sel:WORD_1
	v_mul_f16_sdwa v79, v38, v22 dst_sel:DWORD dst_unused:UNUSED_PAD src0_sel:DWORD src1_sel:WORD_1
	;; [unrolled: 1-line block ×6, first 2 shown]
	v_add_f16_e32 v36, v71, v36
	v_fma_f16 v71, -0.5, v73, v34
	v_add_f16_e32 v34, v77, v74
	v_fmac_f16_e32 v41, -0.5, v72
	v_fmac_f16_e32 v83, v75, v24
	v_fmac_f16_e32 v85, v63, v25
	v_fma_f16 v38, v38, v22, -v78
	v_fmac_f16_e32 v79, v68, v22
	v_fma_f16 v37, v37, v23, -v80
	v_fmac_f16_e32 v81, v69, v23
	v_fma_f16 v39, v39, v24, -v82
	v_fma_f16 v67, v67, v25, -v84
	v_fmamk_f16 v68, v33, 0xbaee, v41
	v_fmac_f16_e32 v41, 0x3aee, v33
	v_pack_b32_f16 v69, v36, v34
	s_waitcnt vmcnt(0)
	v_mul_f16_sdwa v36, v27, v10 dst_sel:DWORD dst_unused:UNUSED_PAD src0_sel:DWORD src1_sel:WORD_1
	v_mul_f16_sdwa v34, v29, v10 dst_sel:DWORD dst_unused:UNUSED_PAD src0_sel:DWORD src1_sel:WORD_1
	;; [unrolled: 1-line block ×4, first 2 shown]
	v_sub_f16_e32 v80, v83, v85
	v_add_f16_e32 v82, v70, v83
	v_add_f16_e32 v83, v83, v85
	v_fmamk_f16 v63, v76, 0x3aee, v71
	v_fmac_f16_e32 v71, 0xbaee, v76
	v_add_f16_e32 v73, v35, v38
	v_add_f16_e32 v74, v38, v37
	v_sub_f16_e32 v75, v79, v81
	v_add_f16_e32 v76, v64, v79
	v_add_f16_e32 v77, v79, v81
	;; [unrolled: 1-line block ×4, first 2 shown]
	v_sub_f16_e32 v39, v39, v67
	v_fma_f16 v29, v29, v10, -v36
	v_fmac_f16_e32 v34, v27, v10
	v_fma_f16 v36, v26, v11, -v72
	v_fmac_f16_e32 v33, v65, v11
	v_fmac_f16_e32 v70, -0.5, v83
	v_lshl_add_u32 v40, v0, 2, v53
	v_sub_f16_e32 v38, v38, v37
	v_pack_b32_f16 v63, v63, v68
	v_pack_b32_f16 v41, v71, v41
	v_add_f16_e32 v26, v73, v37
	v_fmac_f16_e32 v35, -0.5, v74
	v_add_f16_e32 v27, v76, v81
	v_fmac_f16_e32 v64, -0.5, v77
	;; [unrolled: 2-line block ×3, first 2 shown]
	v_add_f16_e32 v65, v82, v85
	v_fmamk_f16 v67, v39, 0xbaee, v70
	v_fmac_f16_e32 v70, 0x3aee, v39
	v_add_f16_e32 v39, v29, v36
	v_add_f16_e32 v71, v34, v33
	ds_write_b32 v40, v63 offset:360
	ds_write_b32 v40, v41 offset:720
	v_fmamk_f16 v41, v75, 0x3aee, v35
	v_fmamk_f16 v63, v38, 0xbaee, v64
	v_fmac_f16_e32 v64, 0x3aee, v38
	v_fmamk_f16 v38, v80, 0x3aee, v32
	v_sub_f16_e32 v68, v34, v33
	v_sub_f16_e32 v72, v29, v36
	v_pack_b32_f16 v73, v26, v27
	v_pack_b32_f16 v65, v37, v65
	v_fma_f16 v27, -0.5, v39, v28
	v_fma_f16 v37, -0.5, v71, v66
	v_fmac_f16_e32 v35, 0xbaee, v75
	v_fmac_f16_e32 v32, 0xbaee, v80
	v_pack_b32_f16 v39, v41, v63
	v_pack_b32_f16 v41, v38, v67
	v_fmamk_f16 v26, v68, 0x3aee, v27
	v_fmac_f16_e32 v27, 0xbaee, v68
	v_fmamk_f16 v38, v72, 0xbaee, v37
	v_fmac_f16_e32 v37, 0x3aee, v72
	v_pack_b32_f16 v35, v35, v64
	v_pack_b32_f16 v32, v32, v70
	ds_write2_b32 v46, v69, v73 offset1:27
	ds_write_b32 v40, v39 offset:468
	ds_write_b32 v40, v35 offset:828
	;; [unrolled: 1-line block ×3, first 2 shown]
	ds_write2_b32 v46, v41, v32 offset0:144 offset1:234
	s_and_saveexec_b32 s0, vcc_lo
	s_cbranch_execz .LBB0_13
; %bb.12:
	v_add_f16_e32 v32, v66, v34
	v_add_f16_e32 v28, v28, v29
	;; [unrolled: 1-line block ×4, first 2 shown]
	v_perm_b32 v32, v38, v26, 0x5040100
	v_perm_b32 v33, v37, v27, 0x5040100
	v_pack_b32_f16 v28, v28, v29
	v_add_nc_u32_e32 v29, 0x200, v40
	ds_write_b32 v46, v28 offset:324
	ds_write2_b32 v29, v32, v33 offset0:43 offset1:133
.LBB0_13:
	s_or_b32 exec_lo, exec_lo, s0
	s_add_u32 s0, s12, 0x438
	s_addc_u32 s1, s13, 0
	s_waitcnt lgkmcnt(0)
	s_barrier
	buffer_gl0_inv
	s_clause 0x9
	global_load_dword v36, v[30:31], off offset:1080
	global_load_dword v39, v55, s[0:1] offset:108
	global_load_dword v41, v55, s[0:1] offset:216
	;; [unrolled: 1-line block ×9, first 2 shown]
	ds_read2_b32 v[28:29], v46 offset1:27
	ds_read2_b32 v[30:31], v46 offset0:54 offset1:108
	ds_read_b32 v69, v40 offset:324
	ds_read2_b32 v[32:33], v46 offset0:135 offset1:162
	ds_read2_b32 v[34:35], v46 offset0:189 offset1:216
	ds_read_b32 v70, v46 offset:972
	s_waitcnt lgkmcnt(5)
	v_lshrrev_b32_e32 v71, 16, v28
	v_lshrrev_b32_e32 v72, 16, v29
	s_waitcnt lgkmcnt(3)
	v_lshrrev_b32_e32 v74, 16, v69
	v_lshrrev_b32_e32 v73, 16, v30
	;; [unrolled: 1-line block ×3, first 2 shown]
	s_waitcnt lgkmcnt(2)
	v_lshrrev_b32_e32 v76, 16, v32
	v_lshrrev_b32_e32 v77, 16, v33
	s_waitcnt lgkmcnt(1)
	v_lshrrev_b32_e32 v78, 16, v34
	v_lshrrev_b32_e32 v79, 16, v35
	s_waitcnt lgkmcnt(0)
	v_lshrrev_b32_e32 v80, 16, v70
	s_waitcnt vmcnt(9)
	v_mul_f16_sdwa v81, v71, v36 dst_sel:DWORD dst_unused:UNUSED_PAD src0_sel:DWORD src1_sel:WORD_1
	v_mul_f16_sdwa v82, v28, v36 dst_sel:DWORD dst_unused:UNUSED_PAD src0_sel:DWORD src1_sel:WORD_1
	s_waitcnt vmcnt(8)
	v_mul_f16_sdwa v83, v72, v39 dst_sel:DWORD dst_unused:UNUSED_PAD src0_sel:DWORD src1_sel:WORD_1
	v_mul_f16_sdwa v84, v29, v39 dst_sel:DWORD dst_unused:UNUSED_PAD src0_sel:DWORD src1_sel:WORD_1
	;; [unrolled: 3-line block ×3, first 2 shown]
	v_mul_f16_sdwa v85, v73, v41 dst_sel:DWORD dst_unused:UNUSED_PAD src0_sel:DWORD src1_sel:WORD_1
	v_mul_f16_sdwa v86, v30, v41 dst_sel:DWORD dst_unused:UNUSED_PAD src0_sel:DWORD src1_sel:WORD_1
	s_waitcnt vmcnt(5)
	v_mul_f16_sdwa v89, v75, v64 dst_sel:DWORD dst_unused:UNUSED_PAD src0_sel:DWORD src1_sel:WORD_1
	v_mul_f16_sdwa v90, v31, v64 dst_sel:DWORD dst_unused:UNUSED_PAD src0_sel:DWORD src1_sel:WORD_1
	s_waitcnt vmcnt(4)
	;; [unrolled: 3-line block ×6, first 2 shown]
	v_mul_f16_sdwa v99, v80, v55 dst_sel:DWORD dst_unused:UNUSED_PAD src0_sel:DWORD src1_sel:WORD_1
	v_mul_f16_sdwa v100, v70, v55 dst_sel:DWORD dst_unused:UNUSED_PAD src0_sel:DWORD src1_sel:WORD_1
	v_fma_f16 v28, v28, v36, -v81
	v_fmac_f16_e32 v82, v71, v36
	v_fma_f16 v29, v29, v39, -v83
	v_fmac_f16_e32 v84, v72, v39
	v_fma_f16 v36, v69, v63, -v87
	v_fmac_f16_e32 v88, v74, v63
	v_fma_f16 v30, v30, v41, -v85
	v_fmac_f16_e32 v86, v73, v41
	v_fma_f16 v31, v31, v64, -v89
	v_fmac_f16_e32 v90, v75, v64
	v_fma_f16 v32, v32, v65, -v91
	v_fmac_f16_e32 v92, v76, v65
	v_fma_f16 v33, v33, v66, -v93
	v_fmac_f16_e32 v94, v77, v66
	v_fma_f16 v34, v34, v67, -v95
	v_fmac_f16_e32 v96, v78, v67
	v_fma_f16 v35, v35, v68, -v97
	v_fmac_f16_e32 v98, v79, v68
	v_fma_f16 v39, v70, v55, -v99
	v_fmac_f16_e32 v100, v80, v55
	v_pack_b32_f16 v28, v28, v82
	v_pack_b32_f16 v29, v29, v84
	;; [unrolled: 1-line block ×10, first 2 shown]
	ds_write2_b32 v46, v28, v29 offset1:27
	ds_write_b32 v40, v36 offset:324
	ds_write2_b32 v46, v30, v31 offset0:54 offset1:108
	ds_write2_b32 v46, v32, v33 offset0:135 offset1:162
	;; [unrolled: 1-line block ×3, first 2 shown]
	ds_write_b32 v46, v39 offset:972
	s_waitcnt lgkmcnt(0)
	s_barrier
	buffer_gl0_inv
	ds_read2_b32 v[28:29], v46 offset0:54 offset1:108
	ds_read2_b32 v[30:31], v46 offset0:135 offset1:162
	;; [unrolled: 1-line block ×3, first 2 shown]
	ds_read2_b32 v[34:35], v46 offset1:27
	ds_read_b32 v36, v40 offset:324
	ds_read_b32 v39, v46 offset:972
	s_waitcnt lgkmcnt(0)
	s_barrier
	buffer_gl0_inv
	v_sub_f16_e32 v65, v28, v29
	v_sub_f16_e32 v68, v29, v28
	;; [unrolled: 1-line block ×4, first 2 shown]
	v_sub_f16_sdwa v74, v28, v29 dst_sel:DWORD dst_unused:UNUSED_PAD src0_sel:WORD_1 src1_sel:WORD_1
	v_sub_f16_sdwa v75, v33, v31 dst_sel:DWORD dst_unused:UNUSED_PAD src0_sel:WORD_1 src1_sel:WORD_1
	v_add_f16_e32 v78, v30, v32
	v_add_f16_sdwa v87, v30, v32 dst_sel:DWORD dst_unused:UNUSED_PAD src0_sel:WORD_1 src1_sel:WORD_1
	v_lshrrev_b32_e32 v88, 16, v35
	v_add_f16_sdwa v93, v36, v39 dst_sel:DWORD dst_unused:UNUSED_PAD src0_sel:WORD_1 src1_sel:WORD_1
	v_add_f16_e32 v41, v29, v31
	v_add_f16_e32 v66, v28, v33
	v_pk_add_f16 v69, v34, v28
	v_add_f16_sdwa v70, v29, v31 dst_sel:DWORD dst_unused:UNUSED_PAD src0_sel:WORD_1 src1_sel:WORD_1
	v_lshrrev_b32_e32 v71, 16, v34
	v_add_f16_sdwa v76, v28, v33 dst_sel:DWORD dst_unused:UNUSED_PAD src0_sel:WORD_1 src1_sel:WORD_1
	v_sub_f16_sdwa v79, v36, v39 dst_sel:DWORD dst_unused:UNUSED_PAD src0_sel:WORD_1 src1_sel:WORD_1
	v_sub_f16_e32 v81, v36, v30
	v_sub_f16_e32 v82, v39, v32
	v_add_f16_e32 v83, v36, v39
	v_sub_f16_e32 v84, v30, v36
	v_sub_f16_e32 v85, v32, v39
	v_pk_add_f16 v86, v35, v36
	v_sub_f16_e32 v89, v36, v39
	v_sub_f16_e32 v90, v30, v32
	v_add_f16_e32 v64, v65, v64
	v_add_f16_e32 v65, v68, v67
	;; [unrolled: 1-line block ×3, first 2 shown]
	v_fma_f16 v68, -0.5, v78, v35
	v_fma_f16 v74, -0.5, v87, v88
	v_fmac_f16_e32 v88, -0.5, v93
	v_sub_f16_sdwa v55, v28, v33 dst_sel:DWORD dst_unused:UNUSED_PAD src0_sel:WORD_1 src1_sel:WORD_1
	v_sub_f16_sdwa v63, v29, v31 dst_sel:DWORD dst_unused:UNUSED_PAD src0_sel:WORD_1 src1_sel:WORD_1
	v_sub_f16_e32 v72, v28, v33
	v_sub_f16_e32 v73, v29, v31
	v_sub_f16_sdwa v28, v29, v28 dst_sel:DWORD dst_unused:UNUSED_PAD src0_sel:WORD_1 src1_sel:WORD_1
	v_sub_f16_sdwa v80, v30, v32 dst_sel:DWORD dst_unused:UNUSED_PAD src0_sel:WORD_1 src1_sel:WORD_1
	;; [unrolled: 1-line block ×6, first 2 shown]
	v_fma_f16 v41, -0.5, v41, v34
	v_fma_f16 v34, -0.5, v66, v34
	v_pk_add_f16 v29, v69, v29
	v_fma_f16 v66, -0.5, v70, v71
	v_fmac_f16_e32 v71, -0.5, v76
	v_add_f16_e32 v69, v81, v82
	v_fma_f16 v35, -0.5, v83, v35
	v_add_f16_e32 v70, v84, v85
	v_pk_add_f16 v30, v86, v30
	v_fmamk_f16 v81, v79, 0xbb9c, v68
	v_fmamk_f16 v83, v89, 0x3b9c, v74
	;; [unrolled: 1-line block ×3, first 2 shown]
	v_fmac_f16_e32 v88, 0x3b9c, v90
	v_fmac_f16_e32 v74, 0xbb9c, v89
	v_sub_f16_sdwa v77, v31, v33 dst_sel:DWORD dst_unused:UNUSED_PAD src0_sel:WORD_1 src1_sel:WORD_1
	v_add_f16_e32 v75, v91, v92
	v_add_f16_e32 v36, v36, v94
	v_pk_add_f16 v29, v29, v31
	v_fmamk_f16 v78, v73, 0xbb9c, v71
	v_fmac_f16_e32 v71, 0x3b9c, v73
	v_fmamk_f16 v82, v80, 0x3b9c, v35
	v_fmac_f16_e32 v35, 0xbb9c, v80
	v_pk_add_f16 v30, v30, v32
	v_fmac_f16_e32 v81, 0xb8b4, v80
	v_fmac_f16_e32 v83, 0x38b4, v90
	;; [unrolled: 1-line block ×4, first 2 shown]
	v_fmamk_f16 v76, v55, 0xbb9c, v41
	v_fmac_f16_e32 v41, 0x3b9c, v55
	v_fmac_f16_e32 v68, 0x3b9c, v79
	;; [unrolled: 1-line block ×3, first 2 shown]
	v_add_f16_e32 v28, v28, v77
	v_fmamk_f16 v77, v63, 0x3b9c, v34
	v_fmac_f16_e32 v34, 0xbb9c, v63
	v_fmamk_f16 v31, v72, 0x3b9c, v66
	v_pk_add_f16 v32, v29, v33
	v_fmac_f16_e32 v78, 0x38b4, v72
	v_fmac_f16_e32 v71, 0xb8b4, v72
	;; [unrolled: 1-line block ×4, first 2 shown]
	v_pk_add_f16 v30, v30, v39
	v_fmac_f16_e32 v81, 0x34f2, v69
	v_fmac_f16_e32 v83, 0x34f2, v75
	;; [unrolled: 1-line block ×16, first 2 shown]
	v_pk_add_f16 v29, v32, v30
	v_pk_add_f16 v32, v32, v30 neg_lo:[0,1] neg_hi:[0,1]
	v_mul_f16_e32 v28, 0xb8b4, v83
	v_mul_f16_e32 v30, 0xbb9c, v84
	v_mul_f16_e32 v33, 0xbb9c, v88
	v_mul_f16_e32 v39, 0x38b4, v81
	v_mul_f16_e32 v55, 0x34f2, v84
	v_mul_f16_e32 v63, 0xb4f2, v88
	v_fmac_f16_e32 v66, 0xb8b4, v73
	v_fmac_f16_e32 v76, 0x34f2, v64
	;; [unrolled: 1-line block ×4, first 2 shown]
	v_mul_f16_e32 v36, 0xb8b4, v74
	v_mul_f16_e32 v64, 0xba79, v74
	v_fmac_f16_e32 v77, 0x34f2, v65
	v_fmac_f16_e32 v34, 0x34f2, v65
	;; [unrolled: 1-line block ×12, first 2 shown]
	v_add_f16_e32 v35, v76, v28
	v_add_f16_e32 v65, v77, v30
	v_add_f16_e32 v67, v34, v33
	v_add_f16_e32 v69, v31, v39
	v_add_f16_e32 v70, v78, v55
	v_add_f16_e32 v72, v71, v63
	v_add_f16_e32 v68, v41, v36
	v_add_f16_e32 v73, v66, v64
	v_sub_f16_e32 v74, v76, v28
	v_sub_f16_e32 v75, v77, v30
	;; [unrolled: 1-line block ×8, first 2 shown]
	v_pack_b32_f16 v34, v67, v72
	v_pack_b32_f16 v33, v65, v70
	;; [unrolled: 1-line block ×8, first 2 shown]
	ds_write2_b64 v54, v[29:30], v[33:34] offset1:1
	ds_write2_b64 v54, v[31:32], v[35:36] offset0:2 offset1:3
	ds_write_b64 v54, v[63:64] offset:32
	s_waitcnt lgkmcnt(0)
	s_barrier
	buffer_gl0_inv
	ds_read2_b32 v[31:32], v46 offset1:27
	ds_read2_b32 v[29:30], v46 offset0:54 offset1:90
	ds_read2_b32 v[35:36], v46 offset0:180 offset1:207
	;; [unrolled: 1-line block ×3, first 2 shown]
	ds_read_b32 v41, v46 offset:936
	s_and_saveexec_b32 s0, vcc_lo
	s_cbranch_execz .LBB0_15
; %bb.14:
	v_add_nc_u32_e32 v26, 0x200, v46
	ds_read_b32 v28, v40 offset:324
	ds_read2_b32 v[26:27], v26 offset0:43 offset1:133
	s_waitcnt lgkmcnt(1)
	v_lshrrev_b32_e32 v39, 16, v28
	s_waitcnt lgkmcnt(0)
	v_lshrrev_b32_e32 v38, 16, v26
	v_lshrrev_b32_e32 v37, 16, v27
.LBB0_15:
	s_or_b32 exec_lo, exec_lo, s0
	s_waitcnt lgkmcnt(3)
	v_lshrrev_b32_e32 v55, 16, v30
	s_waitcnt lgkmcnt(2)
	v_lshrrev_b32_e32 v63, 16, v35
	;; [unrolled: 2-line block ×3, first 2 shown]
	v_lshrrev_b32_e32 v66, 16, v36
	v_mul_f16_sdwa v70, v8, v30 dst_sel:DWORD dst_unused:UNUSED_PAD src0_sel:WORD_1 src1_sel:DWORD
	v_mul_f16_sdwa v68, v8, v55 dst_sel:DWORD dst_unused:UNUSED_PAD src0_sel:WORD_1 src1_sel:DWORD
	;; [unrolled: 1-line block ×3, first 2 shown]
	v_lshrrev_b32_e32 v69, 16, v34
	s_waitcnt lgkmcnt(0)
	v_lshrrev_b32_e32 v71, 16, v41
	v_lshrrev_b32_e32 v54, 16, v31
	v_fmac_f16_e32 v68, v8, v30
	v_mul_f16_sdwa v30, v9, v35 dst_sel:DWORD dst_unused:UNUSED_PAD src0_sel:WORD_1 src1_sel:DWORD
	v_fma_f16 v8, v8, v55, -v70
	v_mul_f16_sdwa v55, v6, v65 dst_sel:DWORD dst_unused:UNUSED_PAD src0_sel:WORD_1 src1_sel:DWORD
	v_fmac_f16_e32 v72, v9, v35
	v_mul_f16_sdwa v35, v6, v33 dst_sel:DWORD dst_unused:UNUSED_PAD src0_sel:WORD_1 src1_sel:DWORD
	v_fma_f16 v9, v9, v63, -v30
	v_mul_f16_sdwa v30, v7, v66 dst_sel:DWORD dst_unused:UNUSED_PAD src0_sel:WORD_1 src1_sel:DWORD
	;; [unrolled: 4-line block ×6, first 2 shown]
	v_fmac_f16_e32 v36, v2, v26
	v_mul_f16_sdwa v26, v3, v27 dst_sel:DWORD dst_unused:UNUSED_PAD src0_sel:WORD_1 src1_sel:DWORD
	v_fma_f16 v2, v2, v38, -v41
	v_add_f16_e32 v38, v68, v72
	v_fmac_f16_e32 v34, v3, v27
	v_lshrrev_b32_e32 v64, 16, v32
	v_fma_f16 v26, v3, v37, -v26
	v_add_f16_e32 v3, v8, v9
	v_sub_f16_e32 v37, v8, v9
	v_add_f16_e32 v8, v54, v8
	v_add_f16_e32 v27, v31, v68
	v_fma_f16 v31, -0.5, v38, v31
	v_fmac_f16_e32 v54, -0.5, v3
	v_sub_f16_e32 v3, v68, v72
	v_add_f16_e32 v8, v8, v9
	v_add_f16_e32 v9, v55, v30
	;; [unrolled: 1-line block ×3, first 2 shown]
	v_fmamk_f16 v41, v37, 0xbaee, v31
	v_fmac_f16_e32 v31, 0x3aee, v37
	v_fmamk_f16 v37, v3, 0x3aee, v54
	v_add_f16_e32 v27, v32, v55
	v_fmac_f16_e32 v54, 0xbaee, v3
	v_add_f16_e32 v3, v6, v7
	v_fmac_f16_e32 v32, -0.5, v9
	v_sub_f16_e32 v9, v6, v7
	v_add_f16_e32 v6, v64, v6
	v_lshrrev_b32_e32 v67, 16, v29
	v_fmac_f16_e32 v64, -0.5, v3
	v_sub_f16_e32 v3, v55, v30
	v_add_f16_e32 v63, v27, v30
	v_add_f16_e32 v6, v6, v7
	;; [unrolled: 1-line block ×3, first 2 shown]
	v_fmamk_f16 v30, v9, 0xbaee, v32
	v_fmac_f16_e32 v32, 0x3aee, v9
	v_fmamk_f16 v9, v3, 0x3aee, v64
	v_add_f16_e32 v27, v29, v35
	v_fmac_f16_e32 v64, 0xbaee, v3
	v_add_f16_e32 v3, v4, v5
	v_fmac_f16_e32 v29, -0.5, v7
	v_sub_f16_e32 v7, v4, v5
	v_add_f16_e32 v4, v67, v4
	v_add_f16_e32 v55, v27, v33
	v_fmac_f16_e32 v67, -0.5, v3
	v_sub_f16_e32 v3, v35, v33
	v_fmamk_f16 v33, v7, 0xbaee, v29
	v_add_f16_e32 v4, v4, v5
	v_add_f16_e32 v5, v36, v34
	v_fmac_f16_e32 v29, 0x3aee, v7
	v_fmamk_f16 v7, v3, 0x3aee, v67
	v_fmac_f16_e32 v67, 0xbaee, v3
	v_add_f16_e32 v3, v2, v26
	v_add_f16_e32 v27, v28, v36
	v_fmac_f16_e32 v28, -0.5, v5
	v_sub_f16_e32 v5, v2, v26
	v_add_f16_e32 v2, v39, v2
	v_fmac_f16_e32 v39, -0.5, v3
	v_sub_f16_e32 v35, v36, v34
	v_add_f16_e32 v3, v27, v34
	v_fmamk_f16 v27, v5, 0xbaee, v28
	v_fmac_f16_e32 v28, 0x3aee, v5
	v_pack_b32_f16 v5, v38, v8
	v_pack_b32_f16 v8, v41, v37
	v_add_f16_e32 v26, v2, v26
	v_fmamk_f16 v2, v35, 0x3aee, v39
	v_fmac_f16_e32 v39, 0xbaee, v35
	s_barrier
	buffer_gl0_inv
	ds_write2_b32 v59, v5, v8 offset1:10
	v_pack_b32_f16 v5, v31, v54
	v_pack_b32_f16 v6, v63, v6
	;; [unrolled: 1-line block ×7, first 2 shown]
	ds_write_b32 v59, v5 offset:80
	ds_write2_b32 v58, v6, v8 offset1:10
	ds_write_b32 v58, v9 offset:80
	ds_write2_b32 v57, v4, v7 offset1:10
	ds_write_b32 v57, v29 offset:80
	s_and_saveexec_b32 s0, vcc_lo
	s_cbranch_execz .LBB0_17
; %bb.16:
	v_lshl_add_u32 v4, v56, 2, v53
	v_perm_b32 v5, v26, v3, 0x5040100
	v_perm_b32 v6, v2, v27, 0x5040100
	;; [unrolled: 1-line block ×3, first 2 shown]
	ds_write2_b32 v4, v5, v6 offset0:240 offset1:250
	ds_write_b32 v4, v7 offset:1040
.LBB0_17:
	s_or_b32 exec_lo, exec_lo, s0
	s_waitcnt lgkmcnt(0)
	s_barrier
	buffer_gl0_inv
	ds_read2_b32 v[6:7], v46 offset1:27
	ds_read2_b32 v[4:5], v46 offset0:54 offset1:90
	ds_read2_b32 v[29:30], v46 offset0:180 offset1:207
	;; [unrolled: 1-line block ×3, first 2 shown]
	ds_read_b32 v31, v46 offset:936
	s_and_saveexec_b32 s0, vcc_lo
	s_cbranch_execz .LBB0_19
; %bb.18:
	v_add_nc_u32_e32 v2, 0x200, v46
	ds_read_b32 v3, v40 offset:324
	ds_read2_b32 v[27:28], v2 offset0:43 offset1:133
	s_waitcnt lgkmcnt(1)
	v_lshrrev_b32_e32 v26, 16, v3
	s_waitcnt lgkmcnt(0)
	v_lshrrev_b32_e32 v2, 16, v27
	v_lshrrev_b32_e32 v39, 16, v28
.LBB0_19:
	s_or_b32 exec_lo, exec_lo, s0
	s_waitcnt lgkmcnt(3)
	v_lshrrev_b32_e32 v33, 16, v5
	s_waitcnt lgkmcnt(2)
	v_lshrrev_b32_e32 v34, 16, v29
	;; [unrolled: 2-line block ×3, first 2 shown]
	v_mul_f16_sdwa v55, v14, v5 dst_sel:DWORD dst_unused:UNUSED_PAD src0_sel:WORD_1 src1_sel:DWORD
	v_lshrrev_b32_e32 v37, 16, v30
	v_mul_f16_sdwa v41, v14, v33 dst_sel:DWORD dst_unused:UNUSED_PAD src0_sel:WORD_1 src1_sel:DWORD
	v_mul_f16_sdwa v57, v15, v34 dst_sel:DWORD dst_unused:UNUSED_PAD src0_sel:WORD_1 src1_sel:DWORD
	v_lshrrev_b32_e32 v54, 16, v9
	s_waitcnt lgkmcnt(0)
	v_lshrrev_b32_e32 v56, 16, v31
	v_lshrrev_b32_e32 v32, 16, v6
	v_fmac_f16_e32 v41, v14, v5
	v_mul_f16_sdwa v5, v15, v29 dst_sel:DWORD dst_unused:UNUSED_PAD src0_sel:WORD_1 src1_sel:DWORD
	v_fma_f16 v14, v14, v33, -v55
	v_mul_f16_sdwa v33, v18, v36 dst_sel:DWORD dst_unused:UNUSED_PAD src0_sel:WORD_1 src1_sel:DWORD
	v_fmac_f16_e32 v57, v15, v29
	v_mul_f16_sdwa v29, v18, v8 dst_sel:DWORD dst_unused:UNUSED_PAD src0_sel:WORD_1 src1_sel:DWORD
	v_fma_f16 v5, v15, v34, -v5
	v_mul_f16_sdwa v15, v19, v37 dst_sel:DWORD dst_unused:UNUSED_PAD src0_sel:WORD_1 src1_sel:DWORD
	;; [unrolled: 4-line block ×6, first 2 shown]
	v_fmac_f16_e32 v30, v12, v27
	v_mul_f16_sdwa v27, v13, v28 dst_sel:DWORD dst_unused:UNUSED_PAD src0_sel:WORD_1 src1_sel:DWORD
	v_fma_f16 v2, v12, v2, -v31
	v_add_f16_e32 v12, v41, v57
	v_fmac_f16_e32 v17, v13, v28
	v_add_f16_e32 v28, v6, v41
	v_fma_f16 v13, v13, v39, -v27
	v_add_f16_e32 v27, v14, v5
	v_fma_f16 v6, -0.5, v12, v6
	v_sub_f16_e32 v12, v14, v5
	v_add_f16_e32 v14, v32, v14
	v_lshrrev_b32_e32 v35, 16, v7
	v_fmac_f16_e32 v32, -0.5, v27
	v_sub_f16_e32 v27, v41, v57
	v_fmamk_f16 v31, v12, 0xbaee, v6
	v_fmac_f16_e32 v6, 0x3aee, v12
	v_add_f16_e32 v12, v33, v15
	v_add_f16_e32 v5, v14, v5
	v_fmamk_f16 v34, v27, 0x3aee, v32
	v_add_f16_e32 v14, v7, v33
	v_fmac_f16_e32 v32, 0xbaee, v27
	v_add_f16_e32 v27, v18, v8
	v_fmac_f16_e32 v7, -0.5, v12
	v_sub_f16_e32 v12, v18, v8
	v_add_f16_e32 v36, v14, v15
	v_add_f16_e32 v14, v35, v18
	v_fmac_f16_e32 v35, -0.5, v27
	v_sub_f16_e32 v15, v33, v15
	v_fmamk_f16 v18, v12, 0xbaee, v7
	v_fmac_f16_e32 v7, 0x3aee, v12
	v_add_f16_e32 v12, v29, v19
	v_lshrrev_b32_e32 v38, 16, v4
	v_add_f16_e32 v8, v14, v8
	v_fmamk_f16 v27, v15, 0x3aee, v35
	v_add_f16_e32 v14, v4, v29
	v_fmac_f16_e32 v35, 0xbaee, v15
	v_add_f16_e32 v15, v16, v9
	v_fmac_f16_e32 v4, -0.5, v12
	v_sub_f16_e32 v12, v16, v9
	v_add_f16_e32 v33, v14, v19
	v_add_f16_e32 v14, v38, v16
	v_fmac_f16_e32 v38, -0.5, v15
	v_sub_f16_e32 v15, v29, v19
	v_fmamk_f16 v19, v12, 0xbaee, v4
	v_fmac_f16_e32 v4, 0x3aee, v12
	v_add_f16_e32 v12, v30, v17
	v_add_f16_e32 v28, v28, v57
	;; [unrolled: 1-line block ×3, first 2 shown]
	v_fmamk_f16 v29, v15, 0x3aee, v38
	v_fmac_f16_e32 v38, 0xbaee, v15
	v_add_f16_e32 v14, v2, v13
	v_add_f16_e32 v15, v3, v30
	v_fmac_f16_e32 v3, -0.5, v12
	v_sub_f16_e32 v12, v2, v13
	v_add_f16_e32 v16, v26, v2
	v_fmac_f16_e32 v26, -0.5, v14
	v_sub_f16_e32 v30, v30, v17
	v_pack_b32_f16 v5, v28, v5
	v_fmamk_f16 v2, v12, 0xbaee, v3
	v_fmac_f16_e32 v3, 0x3aee, v12
	v_pack_b32_f16 v12, v31, v34
	v_add_f16_e32 v14, v15, v17
	v_add_f16_e32 v15, v16, v13
	v_fmamk_f16 v16, v30, 0x3aee, v26
	v_fmac_f16_e32 v26, 0xbaee, v30
	s_barrier
	buffer_gl0_inv
	ds_write2_b32 v46, v5, v12 offset1:30
	v_pack_b32_f16 v5, v6, v32
	v_pack_b32_f16 v6, v36, v8
	;; [unrolled: 1-line block ×7, first 2 shown]
	ds_write_b32 v46, v5 offset:240
	ds_write2_b32 v61, v6, v8 offset1:30
	ds_write_b32 v61, v7 offset:240
	ds_write2_b32 v60, v9, v12 offset1:30
	ds_write_b32 v60, v4 offset:240
	s_and_saveexec_b32 s0, vcc_lo
	s_cbranch_execz .LBB0_21
; %bb.20:
	v_lshl_add_u32 v4, v62, 2, v53
	v_perm_b32 v5, v15, v14, 0x5040100
	v_perm_b32 v6, v16, v2, 0x5040100
	v_perm_b32 v7, v26, v3, 0x5040100
	ds_write2_b32 v4, v5, v6 offset0:180 offset1:210
	ds_write_b32 v4, v7 offset:960
.LBB0_21:
	s_or_b32 exec_lo, exec_lo, s0
	s_waitcnt lgkmcnt(0)
	s_barrier
	buffer_gl0_inv
	ds_read2_b32 v[6:7], v46 offset1:27
	ds_read2_b32 v[4:5], v46 offset0:54 offset1:90
	ds_read2_b32 v[12:13], v46 offset0:180 offset1:207
	;; [unrolled: 1-line block ×3, first 2 shown]
	ds_read_b32 v18, v46 offset:936
	v_add_nc_u32_e32 v17, 0xd8, v46
	s_and_saveexec_b32 s0, vcc_lo
	s_cbranch_execz .LBB0_23
; %bb.22:
	v_add_nc_u32_e32 v2, 0x200, v46
	ds_read_b32 v14, v40 offset:324
	ds_read2_b32 v[2:3], v2 offset0:43 offset1:133
	s_waitcnt lgkmcnt(1)
	v_lshrrev_b32_e32 v15, 16, v14
	s_waitcnt lgkmcnt(0)
	v_lshrrev_b32_e32 v16, 16, v2
	v_lshrrev_b32_e32 v26, 16, v3
.LBB0_23:
	s_or_b32 exec_lo, exec_lo, s0
	s_waitcnt lgkmcnt(3)
	v_lshrrev_b32_e32 v27, 16, v5
	s_waitcnt lgkmcnt(2)
	v_lshrrev_b32_e32 v28, 16, v12
	;; [unrolled: 2-line block ×3, first 2 shown]
	v_mul_f16_sdwa v35, v20, v5 dst_sel:DWORD dst_unused:UNUSED_PAD src0_sel:WORD_1 src1_sel:DWORD
	v_lshrrev_b32_e32 v31, 16, v13
	v_mul_f16_sdwa v33, v20, v27 dst_sel:DWORD dst_unused:UNUSED_PAD src0_sel:WORD_1 src1_sel:DWORD
	v_mul_f16_sdwa v37, v21, v28 dst_sel:DWORD dst_unused:UNUSED_PAD src0_sel:WORD_1 src1_sel:DWORD
	v_lshrrev_b32_e32 v34, 16, v9
	s_waitcnt lgkmcnt(0)
	v_lshrrev_b32_e32 v36, 16, v18
	v_lshrrev_b32_e32 v19, 16, v6
	v_fmac_f16_e32 v33, v20, v5
	v_mul_f16_sdwa v5, v21, v12 dst_sel:DWORD dst_unused:UNUSED_PAD src0_sel:WORD_1 src1_sel:DWORD
	v_fma_f16 v20, v20, v27, -v35
	v_mul_f16_sdwa v27, v22, v30 dst_sel:DWORD dst_unused:UNUSED_PAD src0_sel:WORD_1 src1_sel:DWORD
	v_fmac_f16_e32 v37, v21, v12
	v_mul_f16_sdwa v12, v22, v8 dst_sel:DWORD dst_unused:UNUSED_PAD src0_sel:WORD_1 src1_sel:DWORD
	v_fma_f16 v5, v21, v28, -v5
	v_mul_f16_sdwa v21, v23, v31 dst_sel:DWORD dst_unused:UNUSED_PAD src0_sel:WORD_1 src1_sel:DWORD
	;; [unrolled: 4-line block ×4, first 2 shown]
	v_fmac_f16_e32 v22, v24, v9
	v_mul_f16_sdwa v9, v25, v18 dst_sel:DWORD dst_unused:UNUSED_PAD src0_sel:WORD_1 src1_sel:DWORD
	v_fma_f16 v13, v24, v34, -v13
	v_add_f16_e32 v24, v33, v37
	v_fmac_f16_e32 v23, v25, v18
	v_add_f16_e32 v18, v6, v33
	v_fma_f16 v9, v25, v36, -v9
	v_add_f16_e32 v25, v20, v5
	v_fma_f16 v6, -0.5, v24, v6
	v_sub_f16_e32 v24, v20, v5
	v_add_f16_e32 v20, v19, v20
	v_lshrrev_b32_e32 v29, 16, v7
	v_fmac_f16_e32 v19, -0.5, v25
	v_sub_f16_e32 v25, v33, v37
	v_fmamk_f16 v28, v24, 0xbaee, v6
	v_fmac_f16_e32 v6, 0x3aee, v24
	v_add_f16_e32 v5, v20, v5
	v_add_f16_e32 v20, v27, v21
	v_fmamk_f16 v24, v25, 0x3aee, v19
	v_add_f16_e32 v30, v7, v27
	v_fmac_f16_e32 v19, 0xbaee, v25
	v_add_f16_e32 v25, v12, v8
	v_fmac_f16_e32 v7, -0.5, v20
	v_sub_f16_e32 v20, v12, v8
	v_add_f16_e32 v30, v30, v21
	v_add_f16_e32 v12, v29, v12
	v_fmac_f16_e32 v29, -0.5, v25
	v_sub_f16_e32 v21, v27, v21
	v_lshrrev_b32_e32 v32, 16, v4
	v_add_f16_e32 v27, v22, v23
	v_add_f16_e32 v8, v12, v8
	;; [unrolled: 1-line block ×3, first 2 shown]
	v_fmamk_f16 v12, v21, 0x3aee, v29
	v_fmac_f16_e32 v29, 0xbaee, v21
	v_add_f16_e32 v21, v13, v9
	v_fmamk_f16 v25, v20, 0xbaee, v7
	v_fmac_f16_e32 v7, 0x3aee, v20
	v_add_f16_e32 v20, v4, v22
	v_fmac_f16_e32 v4, -0.5, v27
	v_sub_f16_e32 v27, v13, v9
	v_add_f16_e32 v13, v32, v13
	v_fmac_f16_e32 v32, -0.5, v21
	v_sub_f16_e32 v21, v22, v23
	v_pack_b32_f16 v5, v18, v5
	v_pack_b32_f16 v6, v6, v19
	v_add_f16_e32 v9, v13, v9
	v_pack_b32_f16 v13, v28, v24
	v_add_f16_e32 v20, v20, v23
	v_fmamk_f16 v31, v27, 0xbaee, v4
	v_fmac_f16_e32 v4, 0x3aee, v27
	v_fmamk_f16 v18, v21, 0x3aee, v32
	v_fmac_f16_e32 v32, 0xbaee, v21
	ds_write_b32 v46, v5
	ds_write_b32 v40, v13 offset:360
	ds_write_b32 v40, v6 offset:720
	v_pack_b32_f16 v5, v30, v8
	v_pack_b32_f16 v6, v25, v12
	;; [unrolled: 1-line block ×6, first 2 shown]
	ds_write_b32 v46, v5 offset:108
	ds_write_b32 v40, v6 offset:468
	;; [unrolled: 1-line block ×4, first 2 shown]
	ds_write2_b32 v17, v9, v4 offset0:90 offset1:180
	s_and_saveexec_b32 s0, vcc_lo
	s_cbranch_execz .LBB0_25
; %bb.24:
	v_mul_f16_sdwa v4, v10, v2 dst_sel:DWORD dst_unused:UNUSED_PAD src0_sel:WORD_1 src1_sel:DWORD
	v_mul_f16_sdwa v5, v11, v3 dst_sel:DWORD dst_unused:UNUSED_PAD src0_sel:WORD_1 src1_sel:DWORD
	;; [unrolled: 1-line block ×4, first 2 shown]
	v_fma_f16 v4, v10, v16, -v4
	v_fma_f16 v5, v11, v26, -v5
	v_fmac_f16_e32 v6, v10, v2
	v_fmac_f16_e32 v7, v11, v3
	v_add_f16_e32 v9, v15, v4
	v_add_f16_e32 v2, v4, v5
	v_sub_f16_e32 v4, v4, v5
	v_add_f16_e32 v8, v6, v7
	v_sub_f16_e32 v3, v6, v7
	v_add_f16_e32 v6, v14, v6
	v_fma_f16 v2, -0.5, v2, v15
	v_add_f16_e32 v5, v9, v5
	v_fma_f16 v8, -0.5, v8, v14
	v_add_f16_e32 v6, v6, v7
	v_fmamk_f16 v7, v3, 0xbaee, v2
	v_fmac_f16_e32 v2, 0x3aee, v3
	v_fmamk_f16 v3, v4, 0x3aee, v8
	v_fmac_f16_e32 v8, 0xbaee, v4
	v_pack_b32_f16 v4, v6, v5
	v_add_nc_u32_e32 v5, 0x200, v40
	v_pack_b32_f16 v3, v3, v7
	v_pack_b32_f16 v2, v8, v2
	ds_write_b32 v40, v4 offset:324
	ds_write2_b32 v5, v2, v3 offset0:43 offset1:133
.LBB0_25:
	s_or_b32 exec_lo, exec_lo, s0
	s_waitcnt lgkmcnt(0)
	s_barrier
	buffer_gl0_inv
	ds_read2_b32 v[3:4], v46 offset1:27
	v_mad_u64_u32 v[11:12], null, s8, v0, 0
	s_mov_b32 s4, 0xc901e574
	s_mov_b32 s5, 0x3f6e573a
	s_waitcnt lgkmcnt(0)
	v_lshrrev_b32_e32 v2, 16, v3
	v_mul_f16_sdwa v5, v52, v3 dst_sel:DWORD dst_unused:UNUSED_PAD src0_sel:WORD_1 src1_sel:DWORD
	v_lshrrev_b32_e32 v7, 16, v4
	v_mul_f16_sdwa v6, v51, v4 dst_sel:DWORD dst_unused:UNUSED_PAD src0_sel:WORD_1 src1_sel:DWORD
	v_mul_f16_sdwa v9, v52, v2 dst_sel:DWORD dst_unused:UNUSED_PAD src0_sel:WORD_1 src1_sel:DWORD
	v_fma_f16 v5, v52, v2, -v5
	v_mul_f16_sdwa v15, v51, v7 dst_sel:DWORD dst_unused:UNUSED_PAD src0_sel:WORD_1 src1_sel:DWORD
	v_fma_f16 v2, v51, v7, -v6
	v_fmac_f16_e32 v9, v52, v3
	v_cvt_f32_f16_e32 v8, v5
	v_mad_u64_u32 v[5:6], null, s10, v1, 0
	v_cvt_f32_f16_e32 v10, v2
	ds_read2_b32 v[2:3], v46 offset0:54 offset1:108
	v_cvt_f64_f32_e32 v[7:8], v8
	v_cvt_f32_f16_e32 v13, v9
	v_fmac_f16_e32 v15, v51, v4
	v_cvt_f64_f32_e32 v[9:10], v10
	v_mov_b32_e32 v4, v6
	v_mov_b32_e32 v6, v12
	v_cvt_f64_f32_e32 v[13:14], v13
	v_cvt_f32_f16_e32 v15, v15
	v_mad_u64_u32 v[17:18], null, s11, v1, v[4:5]
	v_cvt_f64_f32_e32 v[15:16], v15
	v_mad_u64_u32 v[18:19], null, s9, v0, v[6:7]
	v_mul_f64 v[7:8], v[7:8], s[4:5]
	s_waitcnt lgkmcnt(0)
	v_lshrrev_b32_e32 v19, 16, v2
	v_mul_f64 v[0:1], v[9:10], s[4:5]
	v_mov_b32_e32 v6, v17
	v_mul_f64 v[9:10], v[13:14], s[4:5]
	v_mul_f16_sdwa v13, v50, v2 dst_sel:DWORD dst_unused:UNUSED_PAD src0_sel:WORD_1 src1_sel:DWORD
	v_mul_f16_sdwa v17, v50, v19 dst_sel:DWORD dst_unused:UNUSED_PAD src0_sel:WORD_1 src1_sel:DWORD
	v_mov_b32_e32 v12, v18
	v_lshlrev_b64 v[4:5], 2, v[5:6]
	v_fma_f16 v6, v50, v19, -v13
	v_fmac_f16_e32 v17, v50, v2
	v_mul_f64 v[13:14], v[15:16], s[4:5]
	v_lshlrev_b64 v[11:12], 2, v[11:12]
	v_add_co_u32 v15, vcc_lo, s2, v4
	v_cvt_f32_f16_e32 v2, v17
	v_add_co_ci_u32_e32 v16, vcc_lo, s3, v5, vcc_lo
	s_mul_i32 s3, s8, 0x6c
	v_cvt_f64_f32_e32 v[4:5], v2
	v_and_or_b32 v2, 0x1ff, v8, v7
	v_lshrrev_b32_e32 v7, 8, v8
	v_and_or_b32 v0, 0x1ff, v1, v0
	v_bfe_u32 v19, v1, 20, 11
	v_and_or_b32 v9, 0x1ff, v10, v9
	v_cmp_ne_u32_e32 vcc_lo, 0, v2
	v_lshrrev_b32_e32 v20, 8, v10
	v_bfe_u32 v21, v10, 20, 11
	v_bfe_u32 v17, v8, 20, 11
	v_lshrrev_b32_e32 v18, 8, v1
	v_cndmask_b32_e64 v2, 0, 1, vcc_lo
	v_cmp_ne_u32_e32 vcc_lo, 0, v0
	v_and_or_b32 v13, 0x1ff, v14, v13
	v_sub_nc_u32_e32 v26, 0x3f1, v19
	v_add_nc_u32_e32 v0, 0xfffffc10, v19
	v_sub_nc_u32_e32 v19, 0x3f1, v21
	v_cndmask_b32_e64 v25, 0, 1, vcc_lo
	v_cmp_ne_u32_e32 vcc_lo, 0, v9
	v_sub_nc_u32_e32 v22, 0x3f1, v17
	v_lshrrev_b32_e32 v23, 8, v14
	v_and_or_b32 v7, 0xffe, v7, v2
	v_and_or_b32 v2, 0xffe, v18, v25
	v_cndmask_b32_e64 v9, 0, 1, vcc_lo
	v_cmp_ne_u32_e32 vcc_lo, 0, v13
	v_med3_i32 v19, v19, 0, 13
	v_add_nc_u32_e32 v17, 0xfffffc10, v17
	v_med3_i32 v22, v22, 0, 13
	v_and_or_b32 v9, 0xffe, v20, v9
	v_cndmask_b32_e64 v13, 0, 1, vcc_lo
	v_or_b32_e32 v20, 0x1000, v7
	v_cmp_ne_u32_e32 vcc_lo, 0, v7
	v_add_nc_u32_e32 v21, 0xfffffc10, v21
	v_or_b32_e32 v25, 0x1000, v9
	v_and_or_b32 v13, 0xffe, v23, v13
	v_med3_i32 v18, v26, 0, 13
	v_lshl_or_b32 v26, v17, 12, v7
	v_cndmask_b32_e64 v7, 0, 1, vcc_lo
	v_lshrrev_b32_e32 v23, v19, v25
	v_lshrrev_b32_e32 v30, v22, v20
	v_cmp_ne_u32_e32 vcc_lo, 0, v9
	v_lshl_or_b32 v29, v21, 12, v9
	v_bfe_u32 v24, v14, 20, 11
	v_lshlrev_b32_e32 v19, v19, v23
	v_lshlrev_b32_e32 v22, v22, v30
	v_cndmask_b32_e64 v9, 0, 1, vcc_lo
	v_or_b32_e32 v31, 0x1000, v13
	v_sub_nc_u32_e32 v27, 0x3f1, v24
	v_cmp_ne_u32_e32 vcc_lo, v19, v25
	v_add_nc_u32_e32 v24, 0xfffffc10, v24
	v_lshl_or_b32 v9, v9, 9, 0x7c00
	v_lshrrev_b32_e32 v10, 16, v10
	v_med3_i32 v27, v27, 0, 13
	v_cndmask_b32_e64 v19, 0, 1, vcc_lo
	v_cmp_ne_u32_e32 vcc_lo, v22, v20
	v_lshl_or_b32 v25, v24, 12, v13
	v_or_b32_e32 v28, 0x1000, v2
	v_lshrrev_b32_e32 v22, v27, v31
	v_or_b32_e32 v19, v23, v19
	v_cndmask_b32_e64 v20, 0, 1, vcc_lo
	v_cmp_ne_u32_e32 vcc_lo, 0, v13
	v_lshl_or_b32 v7, v7, 9, 0x7c00
	v_lshlrev_b32_e32 v23, v27, v22
	v_lshrrev_b32_e32 v8, 16, v8
	v_or_b32_e32 v20, v30, v20
	v_cndmask_b32_e64 v13, 0, 1, vcc_lo
	v_cmp_gt_i32_e32 vcc_lo, 1, v21
	v_lshrrev_b32_e32 v27, v18, v28
	v_lshl_or_b32 v13, v13, 9, 0x7c00
	v_cndmask_b32_e32 v19, v29, v19, vcc_lo
	v_cmp_gt_i32_e32 vcc_lo, 1, v17
	v_lshlrev_b32_e32 v18, v18, v27
	v_cndmask_b32_e32 v20, v26, v20, vcc_lo
	v_cmp_ne_u32_e32 vcc_lo, v23, v31
	v_and_b32_e32 v26, 7, v19
	v_lshrrev_b32_e32 v19, 2, v19
	v_and_b32_e32 v29, 7, v20
	v_cndmask_b32_e64 v23, 0, 1, vcc_lo
	v_cmp_lt_i32_e32 vcc_lo, 5, v26
	v_cmp_eq_u32_e64 s0, 3, v26
	v_lshrrev_b32_e32 v20, 2, v20
	v_cmp_lt_i32_e64 s1, 5, v29
	v_cmp_eq_u32_e64 s2, 3, v29
	v_or_b32_e32 v22, v22, v23
	s_or_b32 vcc_lo, s0, vcc_lo
	v_add_co_ci_u32_e32 v19, vcc_lo, 0, v19, vcc_lo
	s_or_b32 vcc_lo, s2, s1
	v_cmp_ne_u32_e64 s1, v18, v28
	v_add_co_ci_u32_e32 v20, vcc_lo, 0, v20, vcc_lo
	v_cmp_gt_i32_e32 vcc_lo, 31, v21
	s_mul_hi_u32 s2, s8, 0x6c
	v_cndmask_b32_e32 v19, 0x7c00, v19, vcc_lo
	v_cmp_gt_i32_e32 vcc_lo, 1, v24
	v_cndmask_b32_e32 v22, v25, v22, vcc_lo
	v_cmp_gt_i32_e32 vcc_lo, 31, v17
	v_cndmask_b32_e32 v20, 0x7c00, v20, vcc_lo
	v_cmp_eq_u32_e32 vcc_lo, 0x40f, v21
	v_mul_f16_sdwa v21, v48, v3 dst_sel:DWORD dst_unused:UNUSED_PAD src0_sel:WORD_1 src1_sel:DWORD
	v_cndmask_b32_e32 v9, v19, v9, vcc_lo
	v_cmp_eq_u32_e32 vcc_lo, 0x40f, v17
	v_and_b32_e32 v19, 7, v22
	v_cndmask_b32_e64 v17, 0, 1, s1
	v_and_or_b32 v9, 0x8000, v10, v9
	v_cndmask_b32_e32 v7, v20, v7, vcc_lo
	v_cmp_lt_i32_e32 vcc_lo, 5, v19
	v_cmp_eq_u32_e64 s0, 3, v19
	v_lshrrev_b32_e32 v10, 2, v22
	v_or_b32_e32 v17, v27, v17
	v_and_or_b32 v7, 0x8000, v8, v7
	v_and_b32_e32 v8, 0xffff, v9
	s_or_b32 vcc_lo, s0, vcc_lo
	v_lshl_or_b32 v19, v0, 12, v2
	v_add_co_ci_u32_e32 v9, vcc_lo, 0, v10, vcc_lo
	v_lshl_or_b32 v18, v7, 16, v8
	v_cvt_f32_f16_e32 v8, v6
	v_cmp_gt_i32_e32 vcc_lo, 31, v24
	v_mul_f64 v[6:7], v[4:5], s[4:5]
	v_cndmask_b32_e32 v10, 0x7c00, v9, vcc_lo
	v_cvt_f64_f32_e32 v[8:9], v8
	v_add_co_u32 v4, vcc_lo, v15, v11
	v_add_co_ci_u32_e32 v5, vcc_lo, v16, v12, vcc_lo
	v_cmp_gt_i32_e32 vcc_lo, 1, v0
	global_store_dword v[4:5], v18, off
	v_cndmask_b32_e32 v12, v19, v17, vcc_lo
	v_cmp_eq_u32_e32 vcc_lo, 0x40f, v24
	v_cndmask_b32_e32 v11, v10, v13, vcc_lo
	ds_read_b32 v10, v40 offset:324
	v_and_or_b32 v6, 0x1ff, v7, v6
	v_lshrrev_b32_e32 v13, 16, v14
	v_and_b32_e32 v14, 7, v12
	v_lshrrev_b32_e32 v15, 8, v7
	v_mul_f64 v[8:9], v[8:9], s[4:5]
	v_cmp_ne_u32_e64 s1, 0, v6
	v_and_or_b32 v11, 0x8000, v13, v11
	v_cmp_lt_i32_e32 vcc_lo, 5, v14
	v_cmp_eq_u32_e64 s0, 3, v14
	v_lshrrev_b32_e32 v13, 2, v12
	v_cndmask_b32_e64 v6, 0, 1, s1
	v_bfe_u32 v12, v7, 20, 11
	v_and_b32_e32 v11, 0xffff, v11
	s_or_b32 vcc_lo, s0, vcc_lo
	s_mul_i32 s0, s9, 0x6c
	v_add_co_ci_u32_e32 v14, vcc_lo, 0, v13, vcc_lo
	ds_read_b32 v13, v46 offset:972
	v_and_or_b32 v6, 0xffe, v15, v6
	v_sub_nc_u32_e32 v16, 0x3f1, v12
	v_cmp_ne_u32_e32 vcc_lo, 0, v2
	s_waitcnt lgkmcnt(1)
	v_lshrrev_b32_e32 v15, 16, v10
	v_add_nc_u32_e32 v12, 0xfffffc10, v12
	v_or_b32_e32 v17, 0x1000, v6
	v_med3_i32 v16, v16, 0, 13
	v_cndmask_b32_e64 v2, 0, 1, vcc_lo
	v_cmp_gt_i32_e32 vcc_lo, 31, v0
	v_mul_f16_sdwa v18, v49, v15 dst_sel:DWORD dst_unused:UNUSED_PAD src0_sel:WORD_1 src1_sel:DWORD
	v_and_or_b32 v8, 0x1ff, v9, v8
	v_lshrrev_b32_e32 v19, v16, v17
	v_lshl_or_b32 v2, v2, 9, 0x7c00
	v_cndmask_b32_e32 v14, 0x7c00, v14, vcc_lo
	v_cmp_eq_u32_e32 vcc_lo, 0x40f, v0
	v_fmac_f16_e32 v18, v49, v10
	v_lshlrev_b32_e32 v16, v16, v19
	v_bfe_u32 v20, v9, 20, 11
	s_add_i32 s2, s2, s0
	v_cndmask_b32_e32 v2, v14, v2, vcc_lo
	v_cmp_ne_u32_e32 vcc_lo, 0, v8
	v_cvt_f32_f16_e32 v0, v18
	v_lshrrev_b32_e32 v14, 16, v1
	v_lshrrev_b32_e32 v18, 8, v9
	v_mul_f16_sdwa v10, v49, v10 dst_sel:DWORD dst_unused:UNUSED_PAD src0_sel:WORD_1 src1_sel:DWORD
	v_cndmask_b32_e64 v8, 0, 1, vcc_lo
	v_cmp_ne_u32_e32 vcc_lo, v16, v17
	v_cvt_f64_f32_e32 v[0:1], v0
	v_and_or_b32 v2, 0x8000, v14, v2
	v_sub_nc_u32_e32 v14, 0x3f1, v20
	v_and_or_b32 v8, 0xffe, v18, v8
	v_cndmask_b32_e64 v16, 0, 1, vcc_lo
	v_lshl_or_b32 v17, v12, 12, v6
	v_cmp_gt_i32_e32 vcc_lo, 1, v12
	v_med3_i32 v14, v14, 0, 13
	v_or_b32_e32 v18, 0x1000, v8
	v_or_b32_e32 v16, v19, v16
	v_fma_f16 v10, v49, v15, -v10
	v_add_nc_u32_e32 v15, 0xfffffc10, v20
	v_cndmask_b32_e32 v16, v17, v16, vcc_lo
	v_lshl_or_b32 v17, v2, 16, v11
	v_lshrrev_b32_e32 v2, v14, v18
	v_cvt_f32_f16_e32 v10, v10
	v_and_b32_e32 v11, 7, v16
	v_lshrrev_b32_e32 v16, 2, v16
	v_lshlrev_b32_e32 v14, v14, v2
	v_mul_f64 v[0:1], v[0:1], s[4:5]
	v_cmp_lt_i32_e32 vcc_lo, 5, v11
	v_cmp_ne_u32_e64 s0, v14, v18
	v_cndmask_b32_e64 v14, 0, 1, s0
	v_cmp_eq_u32_e64 s0, 3, v11
	v_cvt_f64_f32_e32 v[10:11], v10
	v_or_b32_e32 v2, v2, v14
	s_or_b32 vcc_lo, s0, vcc_lo
	v_lshl_or_b32 v14, v15, 12, v8
	v_add_co_ci_u32_e32 v16, vcc_lo, 0, v16, vcc_lo
	v_cmp_ne_u32_e32 vcc_lo, 0, v6
	v_and_or_b32 v0, 0x1ff, v1, v0
	v_lshrrev_b32_e32 v18, 8, v1
	v_cndmask_b32_e64 v6, 0, 1, vcc_lo
	v_cmp_gt_i32_e32 vcc_lo, 1, v15
	v_bfe_u32 v19, v1, 20, 11
	v_lshl_or_b32 v6, v6, 9, 0x7c00
	v_cndmask_b32_e32 v2, v14, v2, vcc_lo
	v_cmp_gt_i32_e32 vcc_lo, 31, v12
	v_cndmask_b32_e32 v14, 0x7c00, v16, vcc_lo
	v_cmp_ne_u32_e32 vcc_lo, 0, v0
	v_and_b32_e32 v16, 7, v2
	v_lshrrev_b32_e32 v2, 2, v2
	v_cndmask_b32_e64 v0, 0, 1, vcc_lo
	v_cmp_eq_u32_e32 vcc_lo, 0x40f, v12
	v_cmp_eq_u32_e64 s0, 3, v16
	v_and_or_b32 v0, 0xffe, v18, v0
	v_cndmask_b32_e32 v12, v14, v6, vcc_lo
	v_cmp_lt_i32_e32 vcc_lo, 5, v16
	v_lshrrev_b32_e32 v14, 16, v7
	v_mul_f64 v[6:7], v[10:11], s[4:5]
	v_sub_nc_u32_e32 v18, 0x3f1, v19
	v_or_b32_e32 v10, 0x1000, v0
	s_or_b32 vcc_lo, s0, vcc_lo
	v_lshrrev_b32_e32 v16, 16, v3
	v_add_co_ci_u32_e32 v2, vcc_lo, 0, v2, vcc_lo
	v_med3_i32 v11, v18, 0, 13
	v_cmp_ne_u32_e32 vcc_lo, 0, v8
	v_mul_f16_sdwa v20, v48, v16 dst_sel:DWORD dst_unused:UNUSED_PAD src0_sel:WORD_1 src1_sel:DWORD
	v_and_or_b32 v12, 0x8000, v14, v12
	v_lshrrev_b32_e32 v14, 16, v9
	v_lshrrev_b32_e32 v18, v11, v10
	v_cndmask_b32_e64 v8, 0, 1, vcc_lo
	v_cmp_gt_i32_e32 vcc_lo, 31, v15
	v_fmac_f16_e32 v20, v48, v3
	v_add_nc_u32_e32 v19, 0xfffffc10, v19
	v_lshlrev_b32_e32 v11, v11, v18
	v_lshl_or_b32 v8, v8, 9, 0x7c00
	v_cndmask_b32_e32 v2, 0x7c00, v2, vcc_lo
	v_cmp_eq_u32_e32 vcc_lo, 0x40f, v15
	v_and_b32_e32 v12, 0xffff, v12
	v_and_or_b32 v6, 0x1ff, v7, v6
	v_bfe_u32 v15, v7, 20, 11
	v_fma_f16 v16, v48, v16, -v21
	v_cndmask_b32_e32 v2, v2, v8, vcc_lo
	v_cmp_ne_u32_e32 vcc_lo, v11, v10
	v_cvt_f32_f16_e32 v8, v20
	v_lshrrev_b32_e32 v11, 8, v7
	v_and_or_b32 v2, 0x8000, v14, v2
	v_cndmask_b32_e64 v10, 0, 1, vcc_lo
	v_cmp_ne_u32_e32 vcc_lo, 0, v6
	v_cvt_f64_f32_e32 v[8:9], v8
	v_lshl_or_b32 v14, v19, 12, v0
	v_lshl_or_b32 v12, v2, 16, v12
	v_or_b32_e32 v10, v18, v10
	v_cndmask_b32_e64 v6, 0, 1, vcc_lo
	v_cmp_gt_i32_e32 vcc_lo, 1, v19
	v_and_or_b32 v6, 0xffe, v11, v6
	v_sub_nc_u32_e32 v11, 0x3f1, v15
	v_cndmask_b32_e32 v10, v14, v10, vcc_lo
	v_add_co_u32 v4, vcc_lo, v4, s3
	v_or_b32_e32 v14, 0x1000, v6
	v_med3_i32 v11, v11, 0, 13
	v_add_co_ci_u32_e32 v5, vcc_lo, s2, v5, vcc_lo
	v_and_b32_e32 v18, 7, v10
	v_add_co_u32 v2, vcc_lo, v4, s3
	v_lshrrev_b32_e32 v20, v11, v14
	v_mul_f64 v[8:9], v[8:9], s[4:5]
	v_add_co_ci_u32_e32 v3, vcc_lo, s2, v5, vcc_lo
	v_cmp_lt_i32_e32 vcc_lo, 5, v18
	v_lshlrev_b32_e32 v11, v11, v20
	v_cmp_eq_u32_e64 s0, 3, v18
	v_lshrrev_b32_e32 v10, 2, v10
	v_add_nc_u32_e32 v18, 0xfffffc10, v15
	v_cmp_ne_u32_e64 s1, v11, v14
	s_or_b32 vcc_lo, s0, vcc_lo
	v_cvt_f32_f16_e32 v14, v16
	v_add_co_ci_u32_e32 v16, vcc_lo, 0, v10, vcc_lo
	v_cndmask_b32_e64 v11, 0, 1, s1
	v_cmp_ne_u32_e32 vcc_lo, 0, v0
	v_lshl_or_b32 v21, v18, 12, v6
	v_or_b32_e32 v20, v20, v11
	v_cvt_f64_f32_e32 v[10:11], v14
	v_cndmask_b32_e64 v0, 0, 1, vcc_lo
	v_cmp_gt_i32_e32 vcc_lo, 1, v18
	v_and_or_b32 v8, 0x1ff, v9, v8
	ds_read2_b32 v[14:15], v46 offset0:135 offset1:162
	v_lshrrev_b32_e32 v22, 8, v9
	v_lshl_or_b32 v0, v0, 9, 0x7c00
	v_cndmask_b32_e32 v20, v21, v20, vcc_lo
	v_cmp_gt_i32_e32 vcc_lo, 31, v19
	v_bfe_u32 v23, v9, 20, 11
	global_store_dword v[4:5], v17, off
	global_store_dword v[2:3], v12, off
	v_lshrrev_b32_e32 v9, 16, v9
	v_and_b32_e32 v21, 7, v20
	v_cndmask_b32_e32 v16, 0x7c00, v16, vcc_lo
	v_cmp_ne_u32_e32 vcc_lo, 0, v8
	v_cmp_eq_u32_e64 s0, 3, v21
	v_cndmask_b32_e64 v8, 0, 1, vcc_lo
	v_cmp_eq_u32_e32 vcc_lo, 0x40f, v19
	v_lshrrev_b32_e32 v19, 16, v1
	v_and_or_b32 v8, 0xffe, v22, v8
	v_cndmask_b32_e32 v16, v16, v0, vcc_lo
	v_cmp_lt_i32_e32 vcc_lo, 5, v21
	v_mul_f64 v[0:1], v[10:11], s[4:5]
	v_lshrrev_b32_e32 v11, 2, v20
	v_sub_nc_u32_e32 v22, 0x3f1, v23
	v_or_b32_e32 v20, 0x1000, v8
	s_or_b32 vcc_lo, s0, vcc_lo
	s_waitcnt lgkmcnt(0)
	v_lshrrev_b32_e32 v10, 16, v14
	v_add_co_ci_u32_e32 v11, vcc_lo, 0, v11, vcc_lo
	v_med3_i32 v21, v22, 0, 13
	v_cmp_ne_u32_e32 vcc_lo, 0, v6
	v_mul_f16_sdwa v22, v47, v10 dst_sel:DWORD dst_unused:UNUSED_PAD src0_sel:WORD_1 src1_sel:DWORD
	v_and_or_b32 v16, 0x8000, v19, v16
	v_lshrrev_b32_e32 v24, v21, v20
	v_cndmask_b32_e64 v6, 0, 1, vcc_lo
	v_cmp_gt_i32_e32 vcc_lo, 31, v18
	v_fmac_f16_e32 v22, v47, v14
	v_and_b32_e32 v16, 0xffff, v16
	v_lshlrev_b32_e32 v19, v21, v24
	v_lshl_or_b32 v6, v6, 9, 0x7c00
	v_cndmask_b32_e32 v11, 0x7c00, v11, vcc_lo
	v_cmp_eq_u32_e32 vcc_lo, 0x40f, v18
	v_and_or_b32 v0, 0x1ff, v1, v0
	v_cvt_f32_f16_e32 v21, v22
	v_lshrrev_b32_e32 v18, 16, v7
	v_bfe_u32 v22, v1, 20, 11
	v_cndmask_b32_e32 v11, v11, v6, vcc_lo
	v_cmp_ne_u32_e32 vcc_lo, v19, v20
	v_cvt_f64_f32_e32 v[6:7], v21
	v_add_nc_u32_e32 v20, 0xfffffc10, v23
	v_lshrrev_b32_e32 v21, 8, v1
	v_and_or_b32 v11, 0x8000, v18, v11
	v_cndmask_b32_e64 v19, 0, 1, vcc_lo
	v_cmp_ne_u32_e32 vcc_lo, 0, v0
	v_lshl_or_b32 v11, v11, 16, v16
	v_or_b32_e32 v18, v24, v19
	v_cndmask_b32_e64 v0, 0, 1, vcc_lo
	v_lshl_or_b32 v19, v20, 12, v8
	v_cmp_gt_i32_e32 vcc_lo, 1, v20
	v_and_or_b32 v0, 0xffe, v21, v0
	v_sub_nc_u32_e32 v21, 0x3f1, v22
	v_cndmask_b32_e32 v18, v19, v18, vcc_lo
	v_add_co_u32 v2, vcc_lo, v2, s3
	v_or_b32_e32 v19, 0x1000, v0
	v_med3_i32 v21, v21, 0, 13
	v_and_b32_e32 v12, 7, v18
	v_mul_f64 v[4:5], v[6:7], s[4:5]
	v_mul_f16_sdwa v7, v47, v14 dst_sel:DWORD dst_unused:UNUSED_PAD src0_sel:WORD_1 src1_sel:DWORD
	v_add_co_ci_u32_e32 v3, vcc_lo, s2, v3, vcc_lo
	v_lshrrev_b32_e32 v16, v21, v19
	v_cmp_lt_i32_e32 vcc_lo, 5, v12
	v_cmp_eq_u32_e64 s0, 3, v12
	v_lshrrev_b32_e32 v12, 2, v18
	v_fma_f16 v7, v47, v10, -v7
	v_lshlrev_b32_e32 v6, v21, v16
	v_add_nc_u32_e32 v10, 0xfffffc10, v22
	s_or_b32 vcc_lo, s0, vcc_lo
	global_store_dword v[2:3], v11, off
	v_add_co_ci_u32_e32 v12, vcc_lo, 0, v12, vcc_lo
	v_cmp_ne_u32_e64 s1, v6, v19
	v_cvt_f32_f16_e32 v7, v7
	v_cmp_ne_u32_e32 vcc_lo, 0, v8
	v_cndmask_b32_e64 v6, 0, 1, s1
	v_cndmask_b32_e64 v8, 0, 1, vcc_lo
	v_cmp_gt_i32_e32 vcc_lo, 1, v10
	v_and_or_b32 v4, 0x1ff, v5, v4
	v_or_b32_e32 v14, v16, v6
	v_cvt_f64_f32_e32 v[6:7], v7
	v_lshl_or_b32 v16, v10, 12, v0
	v_lshl_or_b32 v8, v8, 9, 0x7c00
	v_lshrrev_b32_e32 v17, 8, v5
	v_bfe_u32 v18, v5, 20, 11
	v_cndmask_b32_e32 v14, v16, v14, vcc_lo
	v_cmp_gt_i32_e32 vcc_lo, 31, v20
	v_and_b32_e32 v16, 7, v14
	v_cndmask_b32_e32 v12, 0x7c00, v12, vcc_lo
	v_cmp_ne_u32_e32 vcc_lo, 0, v4
	v_lshrrev_b32_e32 v14, 2, v14
	v_cmp_eq_u32_e64 s0, 3, v16
	v_cndmask_b32_e64 v4, 0, 1, vcc_lo
	v_cmp_eq_u32_e32 vcc_lo, 0x40f, v20
	v_mul_f64 v[6:7], v[6:7], s[4:5]
	v_and_or_b32 v4, 0xffe, v17, v4
	v_cndmask_b32_e32 v8, v12, v8, vcc_lo
	v_cmp_lt_i32_e32 vcc_lo, 5, v16
	v_sub_nc_u32_e32 v12, 0x3f1, v18
	v_lshrrev_b32_e32 v17, 16, v15
	v_or_b32_e32 v16, 0x1000, v4
	v_and_or_b32 v8, 0x8000, v9, v8
	s_or_b32 vcc_lo, s0, vcc_lo
	v_med3_i32 v12, v12, 0, 13
	v_add_co_ci_u32_e32 v14, vcc_lo, 0, v14, vcc_lo
	v_cmp_ne_u32_e32 vcc_lo, 0, v0
	v_mul_f16_sdwa v20, v45, v17 dst_sel:DWORD dst_unused:UNUSED_PAD src0_sel:WORD_1 src1_sel:DWORD
	v_lshrrev_b32_e32 v19, v12, v16
	v_and_b32_e32 v8, 0xffff, v8
	v_cndmask_b32_e64 v0, 0, 1, vcc_lo
	v_cmp_gt_i32_e32 vcc_lo, 31, v10
	v_lshlrev_b32_e32 v9, v12, v19
	v_fmac_f16_e32 v20, v45, v15
	v_lshrrev_b32_e32 v12, 16, v1
	v_lshl_or_b32 v0, v0, 9, 0x7c00
	v_cndmask_b32_e32 v14, 0x7c00, v14, vcc_lo
	v_cmp_eq_u32_e32 vcc_lo, 0x40f, v10
	v_and_or_b32 v6, 0x1ff, v7, v6
	v_mul_f16_sdwa v15, v45, v15 dst_sel:DWORD dst_unused:UNUSED_PAD src0_sel:WORD_1 src1_sel:DWORD
	v_cndmask_b32_e32 v10, v14, v0, vcc_lo
	v_cmp_ne_u32_e32 vcc_lo, v9, v16
	v_cvt_f32_f16_e32 v0, v20
	v_add_nc_u32_e32 v14, 0xfffffc10, v18
	v_lshrrev_b32_e32 v16, 8, v7
	v_and_or_b32 v10, 0x8000, v12, v10
	v_cndmask_b32_e64 v9, 0, 1, vcc_lo
	v_cmp_ne_u32_e32 vcc_lo, 0, v6
	v_cvt_f64_f32_e32 v[0:1], v0
	v_lshl_or_b32 v12, v14, 12, v4
	v_bfe_u32 v18, v7, 20, 11
	v_or_b32_e32 v9, v19, v9
	v_cndmask_b32_e64 v6, 0, 1, vcc_lo
	v_cmp_gt_i32_e32 vcc_lo, 1, v14
	v_lshl_or_b32 v8, v10, 16, v8
	v_lshrrev_b32_e32 v7, 16, v7
	v_and_or_b32 v6, 0xffe, v16, v6
	v_cndmask_b32_e32 v9, v12, v9, vcc_lo
	v_sub_nc_u32_e32 v12, 0x3f1, v18
	v_add_co_u32 v2, vcc_lo, v2, s3
	v_or_b32_e32 v11, 0x1000, v6
	v_and_b32_e32 v10, 7, v9
	v_med3_i32 v12, v12, 0, 13
	v_add_co_ci_u32_e32 v3, vcc_lo, s2, v3, vcc_lo
	v_cmp_lt_i32_e32 vcc_lo, 5, v10
	v_lshrrev_b32_e32 v16, v12, v11
	v_cmp_eq_u32_e64 s0, 3, v10
	v_mul_f64 v[0:1], v[0:1], s[4:5]
	global_store_dword v[2:3], v8, off
	v_lshrrev_b32_e32 v8, 2, v9
	v_lshlrev_b32_e32 v9, v12, v16
	s_or_b32 vcc_lo, s0, vcc_lo
	v_fma_f16 v10, v45, v17, -v15
	v_add_nc_u32_e32 v17, 0xfffffc10, v18
	v_add_co_ci_u32_e32 v12, vcc_lo, 0, v8, vcc_lo
	v_cmp_ne_u32_e32 vcc_lo, v9, v11
	v_cvt_f32_f16_e32 v10, v10
	ds_read2_b32 v[8:9], v46 offset0:189 offset1:216
	v_add_co_u32 v2, s1, v2, s3
	v_cndmask_b32_e64 v15, 0, 1, vcc_lo
	v_cmp_ne_u32_e32 vcc_lo, 0, v4
	v_cvt_f64_f32_e32 v[10:11], v10
	v_add_co_ci_u32_e64 v3, s1, s2, v3, s1
	v_or_b32_e32 v15, v16, v15
	v_cndmask_b32_e64 v4, 0, 1, vcc_lo
	v_cmp_gt_i32_e32 vcc_lo, 31, v14
	v_lshl_or_b32 v16, v17, 12, v6
	v_and_or_b32 v0, 0x1ff, v1, v0
	v_bfe_u32 v18, v1, 20, 11
	v_lshl_or_b32 v4, v4, 9, 0x7c00
	v_cndmask_b32_e32 v12, 0x7c00, v12, vcc_lo
	v_cmp_gt_i32_e32 vcc_lo, 1, v17
	v_sub_nc_u32_e32 v19, 0x3f1, v18
	v_add_nc_u32_e32 v18, 0xfffffc10, v18
	s_waitcnt lgkmcnt(0)
	v_lshrrev_b32_e32 v20, 16, v8
	v_cndmask_b32_e32 v15, v16, v15, vcc_lo
	v_cmp_ne_u32_e32 vcc_lo, 0, v0
	v_lshrrev_b32_e32 v16, 8, v1
	v_lshrrev_b32_e32 v1, 16, v1
	v_cndmask_b32_e64 v0, 0, 1, vcc_lo
	v_cmp_eq_u32_e32 vcc_lo, 0x40f, v14
	v_and_b32_e32 v14, 7, v15
	v_and_or_b32 v0, 0xffe, v16, v0
	v_cndmask_b32_e32 v12, v12, v4, vcc_lo
	v_cmp_lt_i32_e32 vcc_lo, 5, v14
	v_cmp_eq_u32_e64 s0, 3, v14
	v_lshrrev_b32_e32 v16, 16, v5
	v_mul_f64 v[4:5], v[10:11], s[4:5]
	v_lshrrev_b32_e32 v14, 2, v15
	v_or_b32_e32 v21, 0x1000, v0
	v_med3_i32 v10, v19, 0, 13
	v_mul_f16_sdwa v11, v44, v20 dst_sel:DWORD dst_unused:UNUSED_PAD src0_sel:WORD_1 src1_sel:DWORD
	s_or_b32 vcc_lo, s0, vcc_lo
	v_and_or_b32 v12, 0x8000, v16, v12
	v_add_co_ci_u32_e32 v14, vcc_lo, 0, v14, vcc_lo
	v_lshrrev_b32_e32 v15, v10, v21
	v_cmp_ne_u32_e32 vcc_lo, 0, v6
	v_fmac_f16_e32 v11, v44, v8
	v_and_b32_e32 v12, 0xffff, v12
	v_mul_f16_sdwa v8, v44, v8 dst_sel:DWORD dst_unused:UNUSED_PAD src0_sel:WORD_1 src1_sel:DWORD
	v_lshlrev_b32_e32 v16, v10, v15
	v_cndmask_b32_e64 v6, 0, 1, vcc_lo
	v_cmp_gt_i32_e32 vcc_lo, 31, v17
	v_cvt_f32_f16_e32 v11, v11
	v_fma_f16 v8, v44, v20, -v8
	v_lshl_or_b32 v6, v6, 9, 0x7c00
	v_cndmask_b32_e32 v14, 0x7c00, v14, vcc_lo
	v_cmp_ne_u32_e32 vcc_lo, v16, v21
	v_cvt_f64_f32_e32 v[10:11], v11
	v_and_or_b32 v4, 0x1ff, v5, v4
	v_cvt_f32_f16_e32 v8, v8
	v_cndmask_b32_e64 v16, 0, 1, vcc_lo
	v_cmp_eq_u32_e32 vcc_lo, 0x40f, v17
	v_bfe_u32 v17, v5, 20, 11
	v_cndmask_b32_e32 v6, v14, v6, vcc_lo
	v_cmp_ne_u32_e32 vcc_lo, 0, v4
	v_or_b32_e32 v14, v15, v16
	v_lshrrev_b32_e32 v16, 8, v5
	v_lshl_or_b32 v15, v18, 12, v0
	v_lshrrev_b32_e32 v5, 16, v5
	v_cndmask_b32_e64 v4, 0, 1, vcc_lo
	v_cmp_gt_i32_e32 vcc_lo, 1, v18
	v_and_or_b32 v4, 0xffe, v16, v4
	v_sub_nc_u32_e32 v16, 0x3f1, v17
	v_cndmask_b32_e32 v14, v15, v14, vcc_lo
	v_and_or_b32 v15, 0x8000, v7, v6
	v_mul_f64 v[6:7], v[10:11], s[4:5]
	v_or_b32_e32 v21, 0x1000, v4
	v_med3_i32 v10, v16, 0, 13
	v_and_b32_e32 v19, 7, v14
	v_lshl_or_b32 v12, v15, 16, v12
	v_lshrrev_b32_e32 v11, 2, v14
	v_lshrrev_b32_e32 v15, v10, v21
	v_cmp_lt_i32_e32 vcc_lo, 5, v19
	v_cmp_eq_u32_e64 s0, 3, v19
	v_lshlrev_b32_e32 v10, v10, v15
	s_or_b32 vcc_lo, s0, vcc_lo
	v_add_co_ci_u32_e32 v14, vcc_lo, 0, v11, vcc_lo
	v_cmp_ne_u32_e32 vcc_lo, v10, v21
	v_cvt_f64_f32_e32 v[10:11], v8
	v_add_nc_u32_e32 v8, 0xfffffc10, v17
	v_and_or_b32 v6, 0x1ff, v7, v6
	v_cndmask_b32_e64 v16, 0, 1, vcc_lo
	v_cmp_gt_i32_e32 vcc_lo, 31, v18
	v_lshrrev_b32_e32 v17, 8, v7
	v_bfe_u32 v19, v7, 20, 11
	v_or_b32_e32 v15, v15, v16
	v_cndmask_b32_e32 v14, 0x7c00, v14, vcc_lo
	v_cmp_ne_u32_e32 vcc_lo, 0, v6
	v_lshl_or_b32 v16, v8, 12, v4
	v_cndmask_b32_e64 v6, 0, 1, vcc_lo
	v_cmp_ne_u32_e32 vcc_lo, 0, v0
	v_and_or_b32 v6, 0xffe, v17, v6
	v_cndmask_b32_e64 v0, 0, 1, vcc_lo
	v_cmp_gt_i32_e32 vcc_lo, 1, v8
	v_lshrrev_b32_e32 v17, 16, v9
	v_mul_f64 v[10:11], v[10:11], s[4:5]
	v_or_b32_e32 v21, 0x1000, v6
	v_lshl_or_b32 v0, v0, 9, 0x7c00
	v_cndmask_b32_e32 v15, v16, v15, vcc_lo
	v_sub_nc_u32_e32 v16, 0x3f1, v19
	v_cmp_eq_u32_e32 vcc_lo, 0x40f, v18
	v_mul_f16_sdwa v22, v43, v17 dst_sel:DWORD dst_unused:UNUSED_PAD src0_sel:WORD_1 src1_sel:DWORD
	v_add_nc_u32_e32 v19, 0xfffffc10, v19
	v_and_b32_e32 v20, 7, v15
	v_med3_i32 v16, v16, 0, 13
	v_cndmask_b32_e32 v0, v14, v0, vcc_lo
	v_fmac_f16_e32 v22, v43, v9
	v_cmp_lt_i32_e32 vcc_lo, 5, v20
	v_lshrrev_b32_e32 v14, v16, v21
	v_cmp_eq_u32_e64 s0, 3, v20
	v_and_or_b32 v18, 0x8000, v1, v0
	v_lshrrev_b32_e32 v0, 2, v15
	v_cvt_f32_f16_e32 v15, v22
	v_lshlrev_b32_e32 v1, v16, v14
	s_or_b32 vcc_lo, s0, vcc_lo
	v_add_co_ci_u32_e32 v16, vcc_lo, 0, v0, vcc_lo
	v_cmp_ne_u32_e32 vcc_lo, v1, v21
	v_cvt_f64_f32_e32 v[0:1], v15
	v_lshl_or_b32 v15, v19, 12, v6
	v_and_or_b32 v10, 0x1ff, v11, v10
	v_cndmask_b32_e64 v20, 0, 1, vcc_lo
	v_cmp_ne_u32_e32 vcc_lo, 0, v4
	v_or_b32_e32 v14, v14, v20
	v_cndmask_b32_e64 v4, 0, 1, vcc_lo
	v_cmp_gt_i32_e32 vcc_lo, 31, v8
	v_bfe_u32 v20, v11, 20, 11
	v_lshl_or_b32 v4, v4, 9, 0x7c00
	v_cndmask_b32_e32 v16, 0x7c00, v16, vcc_lo
	v_cmp_gt_i32_e32 vcc_lo, 1, v19
	v_cndmask_b32_e32 v14, v15, v14, vcc_lo
	v_cmp_ne_u32_e32 vcc_lo, 0, v10
	v_lshrrev_b32_e32 v15, 8, v11
	v_mul_f64 v[0:1], v[0:1], s[4:5]
	v_and_b32_e32 v21, 7, v14
	v_cndmask_b32_e64 v10, 0, 1, vcc_lo
	v_cmp_eq_u32_e32 vcc_lo, 0x40f, v8
	v_sub_nc_u32_e32 v8, 0x3f1, v20
	v_cmp_eq_u32_e64 s0, 3, v21
	v_and_or_b32 v10, 0xffe, v15, v10
	v_cndmask_b32_e32 v4, v16, v4, vcc_lo
	v_cmp_lt_i32_e32 vcc_lo, 5, v21
	v_med3_i32 v8, v8, 0, 13
	v_or_b32_e32 v15, 0x1000, v10
	v_and_or_b32 v4, 0x8000, v5, v4
	v_lshrrev_b32_e32 v5, 2, v14
	s_or_b32 vcc_lo, s0, vcc_lo
	v_and_b32_e32 v14, 0xffff, v18
	v_lshrrev_b32_e32 v16, v8, v15
	v_lshrrev_b32_e32 v18, 16, v13
	v_add_co_ci_u32_e32 v5, vcc_lo, 0, v5, vcc_lo
	v_cmp_ne_u32_e32 vcc_lo, 0, v6
	v_lshl_or_b32 v14, v4, 16, v14
	v_lshlrev_b32_e32 v4, v8, v16
	v_mul_f16_sdwa v8, v43, v9 dst_sel:DWORD dst_unused:UNUSED_PAD src0_sel:WORD_1 src1_sel:DWORD
	v_and_or_b32 v0, 0x1ff, v1, v0
	v_cndmask_b32_e64 v6, 0, 1, vcc_lo
	v_cmp_gt_i32_e32 vcc_lo, 31, v19
	v_mul_f16_sdwa v22, v42, v18 dst_sel:DWORD dst_unused:UNUSED_PAD src0_sel:WORD_1 src1_sel:DWORD
	v_fma_f16 v8, v43, v17, -v8
	v_bfe_u32 v17, v1, 20, 11
	v_lshl_or_b32 v6, v6, 9, 0x7c00
	v_cndmask_b32_e32 v5, 0x7c00, v5, vcc_lo
	v_cmp_ne_u32_e32 vcc_lo, v4, v15
	v_add_nc_u32_e32 v15, 0xfffffc10, v20
	v_fmac_f16_e32 v22, v42, v13
	v_mul_f16_sdwa v13, v42, v13 dst_sel:DWORD dst_unused:UNUSED_PAD src0_sel:WORD_1 src1_sel:DWORD
	v_cndmask_b32_e64 v4, 0, 1, vcc_lo
	v_cmp_eq_u32_e32 vcc_lo, 0x40f, v19
	v_fma_f16 v13, v42, v18, -v13
	v_cndmask_b32_e32 v9, v5, v6, vcc_lo
	v_cmp_ne_u32_e32 vcc_lo, 0, v0
	v_or_b32_e32 v6, v16, v4
	v_cvt_f32_f16_e32 v4, v8
	v_lshl_or_b32 v16, v15, 12, v10
	v_lshrrev_b32_e32 v8, 8, v1
	v_cndmask_b32_e64 v0, 0, 1, vcc_lo
	v_cmp_gt_i32_e32 vcc_lo, 1, v15
	v_cvt_f64_f32_e32 v[4:5], v4
	v_cvt_f32_f16_e32 v13, v13
	v_lshrrev_b32_e32 v1, 16, v1
	v_and_or_b32 v0, 0xffe, v8, v0
	v_cndmask_b32_e32 v16, v16, v6, vcc_lo
	v_sub_nc_u32_e32 v6, 0x3f1, v17
	v_lshrrev_b32_e32 v8, 16, v7
	v_add_nc_u32_e32 v17, 0xfffffc10, v17
	v_or_b32_e32 v20, 0x1000, v0
	v_and_b32_e32 v19, 7, v16
	v_med3_i32 v21, v6, 0, 13
	v_add_co_u32 v6, vcc_lo, v2, s3
	v_add_co_ci_u32_e32 v7, vcc_lo, s2, v3, vcc_lo
	v_lshrrev_b32_e32 v24, v21, v20
	v_cmp_lt_i32_e32 vcc_lo, 5, v19
	v_cmp_eq_u32_e64 s0, 3, v19
	v_and_or_b32 v23, 0x8000, v8, v9
	v_lshrrev_b32_e32 v8, 2, v16
	v_lshlrev_b32_e32 v16, v21, v24
	v_cvt_f32_f16_e32 v9, v22
	s_or_b32 vcc_lo, s0, vcc_lo
	v_mul_f64 v[4:5], v[4:5], s[4:5]
	v_add_co_ci_u32_e32 v19, vcc_lo, 0, v8, vcc_lo
	v_cmp_ne_u32_e32 vcc_lo, v16, v20
	v_cvt_f64_f32_e32 v[8:9], v9
	v_lshl_or_b32 v20, v17, 12, v0
	v_cndmask_b32_e64 v16, 0, 1, vcc_lo
	v_cmp_ne_u32_e32 vcc_lo, 0, v10
	v_or_b32_e32 v16, v24, v16
	v_cndmask_b32_e64 v10, 0, 1, vcc_lo
	v_cmp_gt_i32_e32 vcc_lo, 31, v15
	v_lshl_or_b32 v10, v10, 9, 0x7c00
	v_cndmask_b32_e32 v18, 0x7c00, v19, vcc_lo
	v_cmp_gt_i32_e32 vcc_lo, 1, v17
	v_and_or_b32 v4, 0x1ff, v5, v4
	v_lshrrev_b32_e32 v19, 8, v5
	v_cndmask_b32_e32 v16, v20, v16, vcc_lo
	v_cmp_eq_u32_e32 vcc_lo, 0x40f, v15
	v_mul_f64 v[8:9], v[8:9], s[4:5]
	v_bfe_u32 v20, v5, 20, 11
	v_lshrrev_b32_e32 v5, 16, v5
	v_cndmask_b32_e32 v15, v18, v10, vcc_lo
	v_lshrrev_b32_e32 v18, 16, v11
	v_cvt_f64_f32_e32 v[10:11], v13
	v_cmp_ne_u32_e32 vcc_lo, 0, v4
	v_and_b32_e32 v13, 7, v16
	v_and_or_b32 v15, 0x8000, v18, v15
	v_and_b32_e32 v18, 0xffff, v23
	v_cndmask_b32_e64 v4, 0, 1, vcc_lo
	v_cmp_lt_i32_e32 vcc_lo, 5, v13
	v_cmp_eq_u32_e64 s0, 3, v13
	v_lshl_or_b32 v13, v15, 16, v18
	v_lshrrev_b32_e32 v15, 2, v16
	v_and_or_b32 v4, 0xffe, v19, v4
	v_sub_nc_u32_e32 v19, 0x3f1, v20
	s_or_b32 vcc_lo, s0, vcc_lo
	v_add_co_ci_u32_e32 v15, vcc_lo, 0, v15, vcc_lo
	v_or_b32_e32 v16, 0x1000, v4
	v_med3_i32 v18, v19, 0, 13
	v_cmp_ne_u32_e32 vcc_lo, 0, v0
	v_and_or_b32 v8, 0x1ff, v9, v8
	v_mul_f64 v[10:11], v[10:11], s[4:5]
	v_lshrrev_b32_e32 v21, 8, v9
	v_lshrrev_b32_e32 v19, v18, v16
	v_cndmask_b32_e64 v0, 0, 1, vcc_lo
	v_cmp_gt_i32_e32 vcc_lo, 31, v17
	v_bfe_u32 v22, v9, 20, 11
	v_lshrrev_b32_e32 v9, 16, v9
	v_lshlrev_b32_e32 v18, v18, v19
	v_lshl_or_b32 v0, v0, 9, 0x7c00
	v_cndmask_b32_e32 v15, 0x7c00, v15, vcc_lo
	v_cmp_ne_u32_e32 vcc_lo, 0, v8
	v_cndmask_b32_e64 v8, 0, 1, vcc_lo
	v_cmp_ne_u32_e32 vcc_lo, v18, v16
	v_add_nc_u32_e32 v18, 0xfffffc10, v20
	v_sub_nc_u32_e32 v20, 0x3f1, v22
	v_and_or_b32 v8, 0xffe, v21, v8
	v_cndmask_b32_e64 v16, 0, 1, vcc_lo
	v_cmp_eq_u32_e32 vcc_lo, 0x40f, v17
	v_and_or_b32 v10, 0x1ff, v11, v10
	v_bfe_u32 v21, v11, 20, 11
	v_or_b32_e32 v17, 0x1000, v8
	v_cndmask_b32_e32 v0, v15, v0, vcc_lo
	v_or_b32_e32 v15, v19, v16
	v_lshl_or_b32 v16, v18, 12, v4
	v_med3_i32 v19, v20, 0, 13
	v_cmp_gt_i32_e32 vcc_lo, 1, v18
	v_lshrrev_b32_e32 v20, 8, v11
	v_and_or_b32 v0, 0x8000, v1, v0
	v_cndmask_b32_e32 v15, v16, v15, vcc_lo
	v_lshrrev_b32_e32 v16, v19, v17
	v_cmp_ne_u32_e32 vcc_lo, 0, v10
	v_and_b32_e32 v23, 7, v15
	v_lshlrev_b32_e32 v19, v19, v16
	v_cndmask_b32_e64 v10, 0, 1, vcc_lo
	v_lshrrev_b32_e32 v15, 2, v15
	v_cmp_lt_i32_e32 vcc_lo, 5, v23
	v_cmp_ne_u32_e64 s0, v19, v17
	v_and_or_b32 v1, 0xffe, v20, v10
	v_sub_nc_u32_e32 v10, 0x3f1, v21
	v_add_nc_u32_e32 v20, 0xfffffc10, v22
	v_cndmask_b32_e64 v17, 0, 1, s0
	v_cmp_eq_u32_e64 s0, 3, v23
	v_or_b32_e32 v19, 0x1000, v1
	v_med3_i32 v10, v10, 0, 13
	v_lshl_or_b32 v22, v20, 12, v8
	v_or_b32_e32 v16, v16, v17
	s_or_b32 vcc_lo, s0, vcc_lo
	v_add_co_ci_u32_e32 v15, vcc_lo, 0, v15, vcc_lo
	v_lshrrev_b32_e32 v17, v10, v19
	v_cmp_gt_i32_e32 vcc_lo, 1, v20
	v_lshlrev_b32_e32 v10, v10, v17
	v_cndmask_b32_e32 v16, v22, v16, vcc_lo
	v_cmp_ne_u32_e32 vcc_lo, 0, v4
	v_cndmask_b32_e64 v4, 0, 1, vcc_lo
	v_cmp_ne_u32_e32 vcc_lo, v10, v19
	v_add_nc_u32_e32 v19, 0xfffffc10, v21
	v_and_b32_e32 v21, 7, v16
	v_lshl_or_b32 v4, v4, 9, 0x7c00
	v_cndmask_b32_e64 v10, 0, 1, vcc_lo
	v_cmp_gt_i32_e32 vcc_lo, 31, v18
	v_cmp_gt_i32_e64 s1, 1, v19
	v_cmp_eq_u32_e64 s0, 3, v21
	v_or_b32_e32 v10, v17, v10
	v_lshl_or_b32 v17, v19, 12, v1
	v_cndmask_b32_e32 v15, 0x7c00, v15, vcc_lo
	v_cmp_lt_i32_e32 vcc_lo, 5, v21
	v_cndmask_b32_e64 v10, v17, v10, s1
	v_cmp_eq_u32_e64 s1, 0x40f, v18
	s_or_b32 vcc_lo, s0, vcc_lo
	v_cndmask_b32_e64 v4, v15, v4, s1
	v_lshrrev_b32_e32 v15, 2, v16
	v_and_b32_e32 v16, 7, v10
	v_lshrrev_b32_e32 v10, 2, v10
	v_cmp_gt_i32_e64 s1, 31, v20
	v_and_or_b32 v4, 0x8000, v5, v4
	v_add_co_ci_u32_e32 v15, vcc_lo, 0, v15, vcc_lo
	v_cmp_ne_u32_e32 vcc_lo, 0, v8
	v_cmp_eq_u32_e64 s0, 3, v16
	v_and_b32_e32 v5, 0xffff, v0
	v_cndmask_b32_e64 v15, 0x7c00, v15, s1
	v_cndmask_b32_e64 v8, 0, 1, vcc_lo
	v_cmp_lt_i32_e32 vcc_lo, 5, v16
	v_lshl_or_b32 v8, v8, 9, 0x7c00
	s_or_b32 vcc_lo, s0, vcc_lo
	v_add_co_ci_u32_e32 v10, vcc_lo, 0, v10, vcc_lo
	v_cmp_ne_u32_e32 vcc_lo, 0, v1
	v_cndmask_b32_e64 v1, 0, 1, vcc_lo
	v_cmp_eq_u32_e32 vcc_lo, 0x40f, v20
	v_lshl_or_b32 v1, v1, 9, 0x7c00
	v_cndmask_b32_e32 v8, v15, v8, vcc_lo
	v_cmp_gt_i32_e32 vcc_lo, 31, v19
	v_and_or_b32 v8, 0x8000, v9, v8
	v_cndmask_b32_e32 v10, 0x7c00, v10, vcc_lo
	v_cmp_eq_u32_e32 vcc_lo, 0x40f, v19
	v_and_b32_e32 v8, 0xffff, v8
	v_cndmask_b32_e32 v9, v10, v1, vcc_lo
	v_lshrrev_b32_e32 v10, 16, v11
	v_add_co_u32 v0, vcc_lo, v6, s3
	v_add_co_ci_u32_e32 v1, vcc_lo, s2, v7, vcc_lo
	v_lshl_or_b32 v11, v4, 16, v5
	v_and_or_b32 v9, 0x8000, v10, v9
	v_add_co_u32 v4, vcc_lo, v0, s3
	v_add_co_ci_u32_e32 v5, vcc_lo, s2, v1, vcc_lo
	v_lshl_or_b32 v10, v9, 16, v8
	v_add_co_u32 v8, vcc_lo, v4, s3
	v_add_co_ci_u32_e32 v9, vcc_lo, s2, v5, vcc_lo
	global_store_dword v[2:3], v12, off
	global_store_dword v[6:7], v14, off
	;; [unrolled: 1-line block ×5, first 2 shown]
.LBB0_26:
	s_endpgm
	.section	.rodata,"a",@progbits
	.p2align	6, 0x0
	.amdhsa_kernel bluestein_single_fwd_len270_dim1_half_op_CI_CI
		.amdhsa_group_segment_fixed_size 4320
		.amdhsa_private_segment_fixed_size 0
		.amdhsa_kernarg_size 104
		.amdhsa_user_sgpr_count 6
		.amdhsa_user_sgpr_private_segment_buffer 1
		.amdhsa_user_sgpr_dispatch_ptr 0
		.amdhsa_user_sgpr_queue_ptr 0
		.amdhsa_user_sgpr_kernarg_segment_ptr 1
		.amdhsa_user_sgpr_dispatch_id 0
		.amdhsa_user_sgpr_flat_scratch_init 0
		.amdhsa_user_sgpr_private_segment_size 0
		.amdhsa_wavefront_size32 1
		.amdhsa_uses_dynamic_stack 0
		.amdhsa_system_sgpr_private_segment_wavefront_offset 0
		.amdhsa_system_sgpr_workgroup_id_x 1
		.amdhsa_system_sgpr_workgroup_id_y 0
		.amdhsa_system_sgpr_workgroup_id_z 0
		.amdhsa_system_sgpr_workgroup_info 0
		.amdhsa_system_vgpr_workitem_id 0
		.amdhsa_next_free_vgpr 101
		.amdhsa_next_free_sgpr 20
		.amdhsa_reserve_vcc 1
		.amdhsa_reserve_flat_scratch 0
		.amdhsa_float_round_mode_32 0
		.amdhsa_float_round_mode_16_64 0
		.amdhsa_float_denorm_mode_32 3
		.amdhsa_float_denorm_mode_16_64 3
		.amdhsa_dx10_clamp 1
		.amdhsa_ieee_mode 1
		.amdhsa_fp16_overflow 0
		.amdhsa_workgroup_processor_mode 1
		.amdhsa_memory_ordered 1
		.amdhsa_forward_progress 0
		.amdhsa_shared_vgpr_count 0
		.amdhsa_exception_fp_ieee_invalid_op 0
		.amdhsa_exception_fp_denorm_src 0
		.amdhsa_exception_fp_ieee_div_zero 0
		.amdhsa_exception_fp_ieee_overflow 0
		.amdhsa_exception_fp_ieee_underflow 0
		.amdhsa_exception_fp_ieee_inexact 0
		.amdhsa_exception_int_div_zero 0
	.end_amdhsa_kernel
	.text
.Lfunc_end0:
	.size	bluestein_single_fwd_len270_dim1_half_op_CI_CI, .Lfunc_end0-bluestein_single_fwd_len270_dim1_half_op_CI_CI
                                        ; -- End function
	.section	.AMDGPU.csdata,"",@progbits
; Kernel info:
; codeLenInByte = 15644
; NumSgprs: 22
; NumVgprs: 101
; ScratchSize: 0
; MemoryBound: 0
; FloatMode: 240
; IeeeMode: 1
; LDSByteSize: 4320 bytes/workgroup (compile time only)
; SGPRBlocks: 2
; VGPRBlocks: 12
; NumSGPRsForWavesPerEU: 22
; NumVGPRsForWavesPerEU: 101
; Occupancy: 9
; WaveLimiterHint : 1
; COMPUTE_PGM_RSRC2:SCRATCH_EN: 0
; COMPUTE_PGM_RSRC2:USER_SGPR: 6
; COMPUTE_PGM_RSRC2:TRAP_HANDLER: 0
; COMPUTE_PGM_RSRC2:TGID_X_EN: 1
; COMPUTE_PGM_RSRC2:TGID_Y_EN: 0
; COMPUTE_PGM_RSRC2:TGID_Z_EN: 0
; COMPUTE_PGM_RSRC2:TIDIG_COMP_CNT: 0
	.text
	.p2alignl 6, 3214868480
	.fill 48, 4, 3214868480
	.type	__hip_cuid_e7bdb459d9c0f352,@object ; @__hip_cuid_e7bdb459d9c0f352
	.section	.bss,"aw",@nobits
	.globl	__hip_cuid_e7bdb459d9c0f352
__hip_cuid_e7bdb459d9c0f352:
	.byte	0                               ; 0x0
	.size	__hip_cuid_e7bdb459d9c0f352, 1

	.ident	"AMD clang version 19.0.0git (https://github.com/RadeonOpenCompute/llvm-project roc-6.4.0 25133 c7fe45cf4b819c5991fe208aaa96edf142730f1d)"
	.section	".note.GNU-stack","",@progbits
	.addrsig
	.addrsig_sym __hip_cuid_e7bdb459d9c0f352
	.amdgpu_metadata
---
amdhsa.kernels:
  - .args:
      - .actual_access:  read_only
        .address_space:  global
        .offset:         0
        .size:           8
        .value_kind:     global_buffer
      - .actual_access:  read_only
        .address_space:  global
        .offset:         8
        .size:           8
        .value_kind:     global_buffer
      - .actual_access:  read_only
        .address_space:  global
        .offset:         16
        .size:           8
        .value_kind:     global_buffer
      - .actual_access:  read_only
        .address_space:  global
        .offset:         24
        .size:           8
        .value_kind:     global_buffer
      - .actual_access:  read_only
        .address_space:  global
        .offset:         32
        .size:           8
        .value_kind:     global_buffer
      - .offset:         40
        .size:           8
        .value_kind:     by_value
      - .address_space:  global
        .offset:         48
        .size:           8
        .value_kind:     global_buffer
      - .address_space:  global
        .offset:         56
        .size:           8
        .value_kind:     global_buffer
      - .address_space:  global
        .offset:         64
        .size:           8
        .value_kind:     global_buffer
      - .address_space:  global
        .offset:         72
        .size:           8
        .value_kind:     global_buffer
      - .offset:         80
        .size:           4
        .value_kind:     by_value
      - .address_space:  global
        .offset:         88
        .size:           8
        .value_kind:     global_buffer
      - .address_space:  global
        .offset:         96
        .size:           8
        .value_kind:     global_buffer
    .group_segment_fixed_size: 4320
    .kernarg_segment_align: 8
    .kernarg_segment_size: 104
    .language:       OpenCL C
    .language_version:
      - 2
      - 0
    .max_flat_workgroup_size: 108
    .name:           bluestein_single_fwd_len270_dim1_half_op_CI_CI
    .private_segment_fixed_size: 0
    .sgpr_count:     22
    .sgpr_spill_count: 0
    .symbol:         bluestein_single_fwd_len270_dim1_half_op_CI_CI.kd
    .uniform_work_group_size: 1
    .uses_dynamic_stack: false
    .vgpr_count:     101
    .vgpr_spill_count: 0
    .wavefront_size: 32
    .workgroup_processor_mode: 1
amdhsa.target:   amdgcn-amd-amdhsa--gfx1030
amdhsa.version:
  - 1
  - 2
...

	.end_amdgpu_metadata
